;; amdgpu-corpus repo=ROCm/rocFFT kind=compiled arch=gfx906 opt=O3
	.text
	.amdgcn_target "amdgcn-amd-amdhsa--gfx906"
	.amdhsa_code_object_version 6
	.protected	fft_rtc_fwd_len121_factors_11_11_wgs_121_tpt_11_half_ip_CI_sbcc_twdbase6_3step ; -- Begin function fft_rtc_fwd_len121_factors_11_11_wgs_121_tpt_11_half_ip_CI_sbcc_twdbase6_3step
	.globl	fft_rtc_fwd_len121_factors_11_11_wgs_121_tpt_11_half_ip_CI_sbcc_twdbase6_3step
	.p2align	8
	.type	fft_rtc_fwd_len121_factors_11_11_wgs_121_tpt_11_half_ip_CI_sbcc_twdbase6_3step,@function
fft_rtc_fwd_len121_factors_11_11_wgs_121_tpt_11_half_ip_CI_sbcc_twdbase6_3step: ; @fft_rtc_fwd_len121_factors_11_11_wgs_121_tpt_11_half_ip_CI_sbcc_twdbase6_3step
; %bb.0:
	s_load_dwordx2 s[2:3], s[4:5], 0x58
	s_load_dwordx2 s[20:21], s[4:5], 0x0
	s_load_dwordx8 s[8:15], s[4:5], 0x8
	s_movk_i32 s0, 0xc0
	v_cmp_gt_u32_e32 vcc, s0, v0
	s_and_saveexec_b64 s[4:5], vcc
	s_cbranch_execz .LBB0_3
; %bb.1:
	v_add_co_u32_e32 v1, vcc, 0xffffff87, v0
	v_lshlrev_b32_e32 v5, 2, v0
	v_addc_co_u32_e64 v2, s[0:1], 0, -1, vcc
	s_waitcnt lgkmcnt(0)
	v_mov_b32_e32 v4, s9
	v_add_co_u32_e32 v3, vcc, s8, v5
	v_add_u32_e32 v5, 0, v5
	v_addc_co_u32_e32 v4, vcc, 0, v4, vcc
	v_add_u32_e32 v5, 0x14cc, v5
	s_mov_b64 s[8:9], 0x46
	s_mov_b64 s[16:17], 0
.LBB0_2:                                ; =>This Inner Loop Header: Depth=1
	global_load_dword v6, v[3:4], off
	v_add_co_u32_e32 v1, vcc, 0x79, v1
	v_addc_co_u32_e32 v2, vcc, 0, v2, vcc
	v_cmp_lt_u64_e64 s[0:1], s[8:9], v[1:2]
	v_add_co_u32_e32 v3, vcc, 0x1e4, v3
	v_addc_co_u32_e32 v4, vcc, 0, v4, vcc
	s_or_b64 s[16:17], s[0:1], s[16:17]
	s_waitcnt vmcnt(0)
	ds_write_b32 v5, v6
	v_add_u32_e32 v5, 0x1e4, v5
	s_andn2_b64 exec, exec, s[16:17]
	s_cbranch_execnz .LBB0_2
.LBB0_3:
	s_or_b64 exec, exec, s[4:5]
	s_waitcnt lgkmcnt(0)
	s_load_dwordx2 s[8:9], s[12:13], 0x8
	s_mov_b32 s7, 0
	s_waitcnt lgkmcnt(0)
	s_add_u32 s0, s8, -1
	s_addc_u32 s1, s9, -1
	s_add_u32 s4, 0, 0x5d161400
	s_addc_u32 s5, 0, 0x54
	s_mul_hi_u32 s17, s4, -11
	s_add_i32 s5, s5, 0x1745d120
	s_sub_i32 s17, s17, s4
	s_mul_i32 s22, s5, -11
	s_mul_i32 s16, s4, -11
	s_add_i32 s17, s17, s22
	s_mul_hi_u32 s18, s5, s16
	s_mul_i32 s19, s5, s16
	s_mul_i32 s23, s4, s17
	s_mul_hi_u32 s16, s4, s16
	s_mul_hi_u32 s22, s4, s17
	s_add_u32 s16, s16, s23
	s_addc_u32 s22, 0, s22
	s_add_u32 s16, s16, s19
	s_mul_hi_u32 s23, s5, s17
	s_addc_u32 s16, s22, s18
	s_addc_u32 s18, s23, 0
	s_mul_i32 s17, s5, s17
	s_add_u32 s16, s16, s17
	v_mov_b32_e32 v1, s16
	s_addc_u32 s17, 0, s18
	v_add_co_u32_e32 v1, vcc, s4, v1
	s_cmp_lg_u64 vcc, 0
	s_addc_u32 s4, s5, s17
	v_readfirstlane_b32 s17, v1
	s_mul_i32 s16, s0, s4
	s_mul_hi_u32 s18, s0, s17
	s_mul_hi_u32 s5, s0, s4
	s_add_u32 s16, s18, s16
	s_addc_u32 s5, 0, s5
	s_mul_hi_u32 s19, s1, s17
	s_mul_i32 s17, s1, s17
	s_add_u32 s16, s16, s17
	s_mul_hi_u32 s18, s1, s4
	s_addc_u32 s5, s5, s19
	s_addc_u32 s16, s18, 0
	s_mul_i32 s4, s1, s4
	s_add_u32 s4, s5, s4
	s_addc_u32 s5, 0, s16
	s_add_u32 s16, s4, 1
	s_addc_u32 s17, s5, 0
	s_add_u32 s18, s4, 2
	s_mul_i32 s22, s5, 11
	s_mul_hi_u32 s23, s4, 11
	s_addc_u32 s19, s5, 0
	s_add_i32 s23, s23, s22
	s_mul_i32 s22, s4, 11
	v_mov_b32_e32 v1, s22
	v_sub_co_u32_e32 v1, vcc, s0, v1
	s_cmp_lg_u64 vcc, 0
	s_subb_u32 s0, s1, s23
	v_subrev_co_u32_e32 v2, vcc, 11, v1
	s_cmp_lg_u64 vcc, 0
	s_subb_u32 s1, s0, 0
	v_readfirstlane_b32 s22, v2
	s_cmp_gt_u32 s22, 10
	s_cselect_b32 s22, -1, 0
	s_cmp_eq_u32 s1, 0
	s_cselect_b32 s1, s22, -1
	s_cmp_lg_u32 s1, 0
	s_cselect_b32 s1, s18, s16
	s_cselect_b32 s16, s19, s17
	v_readfirstlane_b32 s17, v1
	s_cmp_gt_u32 s17, 10
	s_cselect_b32 s17, -1, 0
	s_cmp_eq_u32 s0, 0
	s_cselect_b32 s0, s17, -1
	s_cmp_lg_u32 s0, 0
	s_cselect_b32 s1, s1, s4
	s_cselect_b32 s0, s16, s5
	s_add_u32 s4, s1, 1
	s_addc_u32 s5, s0, 0
	v_mov_b32_e32 v1, s4
	v_mov_b32_e32 v2, s5
	v_cmp_lt_u64_e32 vcc, s[6:7], v[1:2]
	s_mov_b64 s[22:23], 0
	s_cbranch_vccnz .LBB0_5
; %bb.4:
	v_cvt_f32_u32_e32 v1, s4
	s_sub_i32 s0, 0, s4
	s_mov_b32 s23, s7
	v_rcp_iflag_f32_e32 v1, v1
	v_mul_f32_e32 v1, 0x4f7ffffe, v1
	v_cvt_u32_f32_e32 v1, v1
	v_readfirstlane_b32 s1, v1
	s_mul_i32 s0, s0, s1
	s_mul_hi_u32 s0, s1, s0
	s_add_i32 s1, s1, s0
	s_mul_hi_u32 s0, s6, s1
	s_mul_i32 s16, s0, s4
	s_sub_i32 s16, s6, s16
	s_add_i32 s1, s0, 1
	s_sub_i32 s17, s16, s4
	s_cmp_ge_u32 s16, s4
	s_cselect_b32 s0, s1, s0
	s_cselect_b32 s16, s17, s16
	s_add_i32 s1, s0, 1
	s_cmp_ge_u32 s16, s4
	s_cselect_b32 s22, s1, s0
.LBB0_5:
	s_mul_i32 s0, s22, s5
	s_mul_hi_u32 s1, s22, s4
	s_load_dwordx4 s[16:19], s[14:15], 0x0
	s_add_i32 s1, s1, s0
	s_mul_i32 s0, s22, s4
	s_sub_u32 s36, s6, s0
	s_subb_u32 s0, 0, s1
	s_mul_i32 s0, s0, 11
	s_mul_hi_u32 s33, s36, 11
	s_add_i32 s33, s33, s0
	s_mul_i32 s36, s36, 11
	s_waitcnt lgkmcnt(0)
	s_mul_i32 s0, s18, s33
	s_mul_hi_u32 s1, s18, s36
	s_add_i32 s0, s1, s0
	s_mul_i32 s1, s19, s36
	s_add_i32 s37, s0, s1
	v_cmp_lt_u64_e64 s[0:1], s[10:11], 3
	s_mul_i32 s38, s18, s36
	s_and_b64 vcc, exec, s[0:1]
	s_cbranch_vccnz .LBB0_15
; %bb.6:
	s_add_u32 s24, s14, 16
	s_addc_u32 s25, s15, 0
	s_add_u32 s12, s12, 16
	v_mov_b32_e32 v1, s10
	s_addc_u32 s13, s13, 0
	s_mov_b64 s[26:27], 2
	s_mov_b32 s28, 0
	v_mov_b32_e32 v2, s11
.LBB0_7:                                ; =>This Inner Loop Header: Depth=1
	s_load_dwordx2 s[30:31], s[12:13], 0x0
	s_waitcnt lgkmcnt(0)
	s_or_b64 s[0:1], s[22:23], s[30:31]
	s_mov_b32 s29, s1
	s_cmp_lg_u64 s[28:29], 0
	s_cbranch_scc0 .LBB0_12
; %bb.8:                                ;   in Loop: Header=BB0_7 Depth=1
	v_cvt_f32_u32_e32 v3, s30
	v_cvt_f32_u32_e32 v4, s31
	s_sub_u32 s0, 0, s30
	s_subb_u32 s1, 0, s31
	v_mac_f32_e32 v3, 0x4f800000, v4
	v_rcp_f32_e32 v3, v3
	v_mul_f32_e32 v3, 0x5f7ffffc, v3
	v_mul_f32_e32 v4, 0x2f800000, v3
	v_trunc_f32_e32 v4, v4
	v_mac_f32_e32 v3, 0xcf800000, v4
	v_cvt_u32_f32_e32 v4, v4
	v_cvt_u32_f32_e32 v3, v3
	v_readfirstlane_b32 s29, v4
	v_readfirstlane_b32 s34, v3
	s_mul_i32 s35, s0, s29
	s_mul_hi_u32 s40, s0, s34
	s_mul_i32 s39, s1, s34
	s_add_i32 s35, s40, s35
	s_mul_i32 s41, s0, s34
	s_add_i32 s35, s35, s39
	s_mul_hi_u32 s39, s34, s35
	s_mul_i32 s40, s34, s35
	s_mul_hi_u32 s34, s34, s41
	s_add_u32 s34, s34, s40
	s_addc_u32 s39, 0, s39
	s_mul_hi_u32 s42, s29, s41
	s_mul_i32 s41, s29, s41
	s_add_u32 s34, s34, s41
	s_mul_hi_u32 s40, s29, s35
	s_addc_u32 s34, s39, s42
	s_addc_u32 s39, s40, 0
	s_mul_i32 s35, s29, s35
	s_add_u32 s34, s34, s35
	s_addc_u32 s35, 0, s39
	v_add_co_u32_e32 v3, vcc, s34, v3
	s_cmp_lg_u64 vcc, 0
	s_addc_u32 s29, s29, s35
	v_readfirstlane_b32 s35, v3
	s_mul_i32 s34, s0, s29
	s_mul_hi_u32 s39, s0, s35
	s_add_i32 s34, s39, s34
	s_mul_i32 s1, s1, s35
	s_add_i32 s34, s34, s1
	s_mul_i32 s0, s0, s35
	s_mul_hi_u32 s39, s29, s0
	s_mul_i32 s40, s29, s0
	s_mul_i32 s42, s35, s34
	s_mul_hi_u32 s0, s35, s0
	s_mul_hi_u32 s41, s35, s34
	s_add_u32 s0, s0, s42
	s_addc_u32 s35, 0, s41
	s_add_u32 s0, s0, s40
	s_mul_hi_u32 s1, s29, s34
	s_addc_u32 s0, s35, s39
	s_addc_u32 s1, s1, 0
	s_mul_i32 s34, s29, s34
	s_add_u32 s0, s0, s34
	s_addc_u32 s1, 0, s1
	v_add_co_u32_e32 v3, vcc, s0, v3
	s_cmp_lg_u64 vcc, 0
	s_addc_u32 s0, s29, s1
	v_readfirstlane_b32 s34, v3
	s_mul_i32 s29, s22, s0
	s_mul_hi_u32 s35, s22, s34
	s_mul_hi_u32 s1, s22, s0
	s_add_u32 s29, s35, s29
	s_addc_u32 s1, 0, s1
	s_mul_hi_u32 s39, s23, s34
	s_mul_i32 s34, s23, s34
	s_add_u32 s29, s29, s34
	s_mul_hi_u32 s35, s23, s0
	s_addc_u32 s1, s1, s39
	s_addc_u32 s29, s35, 0
	s_mul_i32 s0, s23, s0
	s_add_u32 s34, s1, s0
	s_addc_u32 s29, 0, s29
	s_mul_i32 s0, s30, s29
	s_mul_hi_u32 s1, s30, s34
	s_add_i32 s0, s1, s0
	s_mul_i32 s1, s31, s34
	s_add_i32 s35, s0, s1
	s_mul_i32 s1, s30, s34
	v_mov_b32_e32 v3, s1
	s_sub_i32 s0, s23, s35
	v_sub_co_u32_e32 v3, vcc, s22, v3
	s_cmp_lg_u64 vcc, 0
	s_subb_u32 s39, s0, s31
	v_subrev_co_u32_e64 v4, s[0:1], s30, v3
	s_cmp_lg_u64 s[0:1], 0
	s_subb_u32 s0, s39, 0
	s_cmp_ge_u32 s0, s31
	v_readfirstlane_b32 s39, v4
	s_cselect_b32 s1, -1, 0
	s_cmp_ge_u32 s39, s30
	s_cselect_b32 s39, -1, 0
	s_cmp_eq_u32 s0, s31
	s_cselect_b32 s0, s39, s1
	s_add_u32 s1, s34, 1
	s_addc_u32 s39, s29, 0
	s_add_u32 s40, s34, 2
	s_addc_u32 s41, s29, 0
	s_cmp_lg_u32 s0, 0
	s_cselect_b32 s0, s40, s1
	s_cselect_b32 s1, s41, s39
	s_cmp_lg_u64 vcc, 0
	s_subb_u32 s35, s23, s35
	s_cmp_ge_u32 s35, s31
	v_readfirstlane_b32 s40, v3
	s_cselect_b32 s39, -1, 0
	s_cmp_ge_u32 s40, s30
	s_cselect_b32 s40, -1, 0
	s_cmp_eq_u32 s35, s31
	s_cselect_b32 s35, s40, s39
	s_cmp_lg_u32 s35, 0
	s_cselect_b32 s1, s1, s29
	s_cselect_b32 s0, s0, s34
	s_cbranch_execnz .LBB0_10
.LBB0_9:                                ;   in Loop: Header=BB0_7 Depth=1
	v_cvt_f32_u32_e32 v3, s30
	s_sub_i32 s0, 0, s30
	v_rcp_iflag_f32_e32 v3, v3
	v_mul_f32_e32 v3, 0x4f7ffffe, v3
	v_cvt_u32_f32_e32 v3, v3
	v_readfirstlane_b32 s1, v3
	s_mul_i32 s0, s0, s1
	s_mul_hi_u32 s0, s1, s0
	s_add_i32 s1, s1, s0
	s_mul_hi_u32 s0, s22, s1
	s_mul_i32 s29, s0, s30
	s_sub_i32 s29, s22, s29
	s_add_i32 s1, s0, 1
	s_sub_i32 s34, s29, s30
	s_cmp_ge_u32 s29, s30
	s_cselect_b32 s0, s1, s0
	s_cselect_b32 s29, s34, s29
	s_add_i32 s1, s0, 1
	s_cmp_ge_u32 s29, s30
	s_cselect_b32 s0, s1, s0
	s_mov_b32 s1, s28
.LBB0_10:                               ;   in Loop: Header=BB0_7 Depth=1
	s_mul_i32 s5, s30, s5
	s_mul_hi_u32 s29, s30, s4
	s_add_i32 s5, s29, s5
	s_mul_i32 s29, s31, s4
	s_add_i32 s5, s5, s29
	s_mul_i32 s29, s0, s31
	s_mul_hi_u32 s31, s0, s30
	s_load_dwordx2 s[34:35], s[24:25], 0x0
	s_add_i32 s29, s31, s29
	s_mul_i32 s31, s1, s30
	s_mul_i32 s4, s30, s4
	s_add_i32 s29, s29, s31
	s_mul_i32 s30, s0, s30
	s_sub_u32 s22, s22, s30
	s_subb_u32 s23, s23, s29
	s_waitcnt lgkmcnt(0)
	s_mul_i32 s23, s34, s23
	s_mul_hi_u32 s29, s34, s22
	s_add_i32 s23, s29, s23
	s_mul_i32 s29, s35, s22
	s_add_i32 s23, s23, s29
	s_mul_i32 s22, s34, s22
	s_add_u32 s38, s22, s38
	s_addc_u32 s37, s23, s37
	s_add_u32 s26, s26, 1
	s_addc_u32 s27, s27, 0
	;; [unrolled: 2-line block ×3, first 2 shown]
	v_cmp_ge_u64_e32 vcc, s[26:27], v[1:2]
	s_add_u32 s12, s12, 8
	s_addc_u32 s13, s13, 0
	s_cbranch_vccnz .LBB0_13
; %bb.11:                               ;   in Loop: Header=BB0_7 Depth=1
	s_mov_b64 s[22:23], s[0:1]
	s_branch .LBB0_7
.LBB0_12:                               ;   in Loop: Header=BB0_7 Depth=1
                                        ; implicit-def: $sgpr0_sgpr1
	s_branch .LBB0_9
.LBB0_13:
	v_mov_b32_e32 v1, s4
	v_mov_b32_e32 v2, s5
	v_cmp_lt_u64_e32 vcc, s[6:7], v[1:2]
	s_mov_b64 s[22:23], 0
	s_cbranch_vccnz .LBB0_15
; %bb.14:
	v_cvt_f32_u32_e32 v1, s4
	s_sub_i32 s0, 0, s4
	v_rcp_iflag_f32_e32 v1, v1
	v_mul_f32_e32 v1, 0x4f7ffffe, v1
	v_cvt_u32_f32_e32 v1, v1
	v_readfirstlane_b32 s1, v1
	s_mul_i32 s0, s0, s1
	s_mul_hi_u32 s0, s1, s0
	s_add_i32 s1, s1, s0
	s_mul_hi_u32 s0, s6, s1
	s_mul_i32 s5, s0, s4
	s_sub_i32 s5, s6, s5
	s_add_i32 s1, s0, 1
	s_sub_i32 s6, s5, s4
	s_cmp_ge_u32 s5, s4
	s_cselect_b32 s0, s1, s0
	s_cselect_b32 s5, s6, s5
	s_add_i32 s1, s0, 1
	s_cmp_ge_u32 s5, s4
	s_cselect_b32 s22, s1, s0
.LBB0_15:
	s_lshl_b64 s[0:1], s[10:11], 3
	s_add_u32 s0, s14, s0
	s_addc_u32 s1, s15, s1
	s_load_dwordx2 s[0:1], s[0:1], 0x0
	s_mov_b32 s4, 0x1745d175
	v_mul_hi_u32 v19, v0, s4
	v_mov_b32_e32 v1, s8
	v_mov_b32_e32 v2, s9
	s_waitcnt lgkmcnt(0)
	s_mul_i32 s1, s1, s22
	s_mul_hi_u32 s4, s0, s22
	s_mul_i32 s0, s0, s22
	s_add_i32 s1, s4, s1
	s_add_u32 s4, s0, s38
	s_addc_u32 s5, s1, s37
	s_add_u32 s0, s36, 11
	s_addc_u32 s1, s33, 0
	v_cmp_le_u64_e32 vcc, s[0:1], v[1:2]
	v_mul_u32_u24_e32 v1, 11, v19
	v_sub_u32_e32 v25, v0, v1
	v_mov_b32_e32 v1, s33
	v_add_co_u32_e64 v0, s[0:1], s36, v25
	v_addc_co_u32_e64 v1, s[0:1], 0, v1, s[0:1]
	v_cmp_gt_u64_e64 s[0:1], s[8:9], v[0:1]
	v_mov_b32_e32 v1, 0
	s_or_b64 s[0:1], vcc, s[0:1]
	v_lshlrev_b32_e32 v26, 2, v19
	v_add_u32_e32 v24, 11, v19
	v_add_u32_e32 v23, 22, v19
	;; [unrolled: 1-line block ×5, first 2 shown]
	s_and_saveexec_b64 s[6:7], s[0:1]
	s_cbranch_execz .LBB0_17
; %bb.16:
	v_mad_u64_u32 v[2:3], s[8:9], s18, v25, 0
	v_mad_u64_u32 v[4:5], s[8:9], s16, v19, 0
	v_mov_b32_e32 v0, v3
	v_mad_u64_u32 v[6:7], s[8:9], s19, v25, v[0:1]
	v_mov_b32_e32 v0, v5
	v_mad_u64_u32 v[7:8], s[8:9], s17, v19, v[0:1]
	s_lshl_b64 s[8:9], s[4:5], 2
	s_add_u32 s10, s2, s8
	s_addc_u32 s8, s3, s9
	v_mov_b32_e32 v3, v6
	v_mov_b32_e32 v5, v7
	;; [unrolled: 1-line block ×3, first 2 shown]
	v_mad_u64_u32 v[6:7], s[8:9], s16, v24, 0
	v_lshlrev_b64 v[2:3], 2, v[2:3]
	v_mad_u64_u32 v[8:9], s[8:9], s16, v23, 0
	v_add_co_u32_e32 v33, vcc, s10, v2
	v_addc_co_u32_e32 v34, vcc, v0, v3, vcc
	v_mov_b32_e32 v0, v7
	v_lshlrev_b64 v[2:3], 2, v[4:5]
	v_mad_u64_u32 v[4:5], s[8:9], s17, v24, v[0:1]
	v_mov_b32_e32 v0, v9
	v_mad_u64_u32 v[10:11], s[8:9], s16, v22, 0
	v_mov_b32_e32 v7, v4
	v_lshlrev_b64 v[4:5], 2, v[6:7]
	v_mad_u64_u32 v[6:7], s[8:9], s17, v23, v[0:1]
	v_mov_b32_e32 v0, v11
	v_mad_u64_u32 v[12:13], s[8:9], s16, v21, 0
	;; [unrolled: 5-line block ×3, first 2 shown]
	v_mov_b32_e32 v11, v8
	v_lshlrev_b64 v[8:9], 2, v[10:11]
	v_mad_u64_u32 v[10:11], s[8:9], s17, v21, v[0:1]
	v_mov_b32_e32 v0, v15
	v_add_u32_e32 v18, 0x42, v19
	v_mov_b32_e32 v13, v10
	v_lshlrev_b64 v[10:11], 2, v[12:13]
	v_mad_u64_u32 v[12:13], s[8:9], s17, v20, v[0:1]
	v_mad_u64_u32 v[16:17], s[8:9], s16, v18, 0
	v_mov_b32_e32 v15, v12
	v_lshlrev_b64 v[12:13], 2, v[14:15]
	v_mov_b32_e32 v0, v17
	v_mad_u64_u32 v[14:15], s[8:9], s17, v18, v[0:1]
	v_add_u32_e32 v18, 0x4d, v19
	v_mad_u64_u32 v[27:28], s[8:9], s16, v18, 0
	v_mov_b32_e32 v17, v14
	v_lshlrev_b64 v[14:15], 2, v[16:17]
	v_mov_b32_e32 v0, v28
	v_mad_u64_u32 v[16:17], s[8:9], s17, v18, v[0:1]
	v_add_u32_e32 v29, 0x58, v19
	v_mad_u64_u32 v[17:18], s[8:9], s16, v29, 0
	v_add_co_u32_e32 v2, vcc, v33, v2
	v_mov_b32_e32 v0, v18
	v_mad_u64_u32 v[29:30], s[8:9], s17, v29, v[0:1]
	v_addc_co_u32_e32 v3, vcc, v34, v3, vcc
	v_add_co_u32_e32 v4, vcc, v33, v4
	v_mov_b32_e32 v18, v29
	v_addc_co_u32_e32 v5, vcc, v34, v5, vcc
	v_mov_b32_e32 v28, v16
	v_lshlrev_b64 v[16:17], 2, v[17:18]
	v_add_u32_e32 v18, 0x63, v19
	v_add_co_u32_e32 v6, vcc, v33, v6
	v_mad_u64_u32 v[29:30], s[8:9], s16, v18, 0
	v_addc_co_u32_e32 v7, vcc, v34, v7, vcc
	v_add_co_u32_e32 v8, vcc, v33, v8
	v_addc_co_u32_e32 v9, vcc, v34, v9, vcc
	v_add_co_u32_e32 v10, vcc, v33, v10
	v_mov_b32_e32 v0, v30
	v_addc_co_u32_e32 v11, vcc, v34, v11, vcc
	v_mad_u64_u32 v[30:31], s[8:9], s17, v18, v[0:1]
	v_add_u32_e32 v18, 0x6e, v19
	v_add_co_u32_e32 v12, vcc, v33, v12
	v_mad_u64_u32 v[31:32], s[8:9], s16, v18, 0
	v_addc_co_u32_e32 v13, vcc, v34, v13, vcc
	v_add_co_u32_e32 v14, vcc, v33, v14
	v_lshlrev_b64 v[27:28], 2, v[27:28]
	v_addc_co_u32_e32 v15, vcc, v34, v15, vcc
	v_add_co_u32_e32 v27, vcc, v33, v27
	v_mov_b32_e32 v0, v32
	v_addc_co_u32_e32 v28, vcc, v34, v28, vcc
	global_load_dword v35, v[2:3], off
	global_load_dword v36, v[4:5], off
	global_load_dword v37, v[6:7], off
	global_load_dword v38, v[8:9], off
	global_load_dword v39, v[10:11], off
	global_load_dword v40, v[12:13], off
	global_load_dword v41, v[14:15], off
	global_load_dword v42, v[27:28], off
	v_mad_u64_u32 v[4:5], s[8:9], s17, v18, v[0:1]
	v_add_co_u32_e32 v16, vcc, v33, v16
	v_lshlrev_b64 v[2:3], 2, v[29:30]
	v_addc_co_u32_e32 v17, vcc, v34, v17, vcc
	v_mov_b32_e32 v32, v4
	v_add_co_u32_e32 v2, vcc, v33, v2
	v_lshlrev_b64 v[4:5], 2, v[31:32]
	v_addc_co_u32_e32 v3, vcc, v34, v3, vcc
	v_add_co_u32_e32 v4, vcc, v33, v4
	v_addc_co_u32_e32 v5, vcc, v34, v5, vcc
	global_load_dword v0, v[16:17], off
	global_load_dword v6, v[2:3], off
	;; [unrolled: 1-line block ×3, first 2 shown]
	s_movk_i32 s8, 0x1e4
	v_mul_lo_u32 v2, v25, s8
	v_add3_u32 v2, 0, v2, v26
	s_waitcnt vmcnt(9)
	ds_write2_b32 v2, v35, v36 offset1:11
	s_waitcnt vmcnt(7)
	ds_write2_b32 v2, v37, v38 offset0:22 offset1:33
	s_waitcnt vmcnt(5)
	ds_write2_b32 v2, v39, v40 offset0:44 offset1:55
	;; [unrolled: 2-line block ×4, first 2 shown]
	s_waitcnt vmcnt(0)
	ds_write_b32 v2, v7 offset:440
.LBB0_17:
	s_or_b64 exec, exec, s[6:7]
	s_add_u32 s6, 0, 0x5d161400
	s_addc_u32 s7, 0, 0x54
	s_add_i32 s7, s7, 0x1745d120
	s_mul_hi_u32 s11, s6, -11
	s_sub_i32 s11, s11, s6
	s_mul_i32 s12, s7, -11
	s_mul_i32 s8, s6, -11
	s_add_i32 s11, s11, s12
	s_mul_hi_u32 s9, s7, s8
	s_mul_i32 s10, s7, s8
	s_mul_i32 s13, s6, s11
	s_mul_hi_u32 s8, s6, s8
	s_mul_hi_u32 s12, s6, s11
	s_add_u32 s8, s8, s13
	s_addc_u32 s12, 0, s12
	s_add_u32 s8, s8, s10
	s_mul_hi_u32 s13, s7, s11
	s_addc_u32 s8, s12, s9
	s_addc_u32 s9, s13, 0
	s_mul_i32 s10, s7, s11
	v_mov_b32_e32 v0, s33
	v_add_co_u32_e32 v27, vcc, s36, v19
	s_add_u32 s8, s8, s10
	v_addc_co_u32_e32 v6, vcc, 0, v0, vcc
	v_mov_b32_e32 v0, s8
	s_addc_u32 s9, 0, s9
	v_add_co_u32_e32 v0, vcc, s6, v0
	s_cmp_lg_u64 vcc, 0
	s_addc_u32 s8, s7, s9
	v_mad_u64_u32 v[2:3], s[6:7], v27, s8, 0
	v_mul_hi_u32 v4, v27, v0
	s_waitcnt lgkmcnt(0)
	s_barrier
	v_add_co_u32_e32 v7, vcc, v4, v2
	v_addc_co_u32_e32 v8, vcc, 0, v3, vcc
	v_mad_u64_u32 v[2:3], s[6:7], v6, v0, 0
	v_mad_u64_u32 v[4:5], s[6:7], v6, s8, 0
	v_add_co_u32_e32 v0, vcc, v7, v2
	v_addc_co_u32_e32 v0, vcc, v8, v3, vcc
	v_addc_co_u32_e32 v2, vcc, 0, v5, vcc
	v_add_co_u32_e32 v0, vcc, v0, v4
	v_addc_co_u32_e32 v4, vcc, 0, v2, vcc
	v_mad_u64_u32 v[2:3], s[6:7], v0, 11, 0
	s_mov_b32 s15, 0xb853
	s_mov_b32 s11, 0xffff
	v_mov_b32_e32 v0, v3
	v_mad_u64_u32 v[3:4], s[6:7], v4, 11, v[0:1]
	v_sub_co_u32_e32 v0, vcc, v27, v2
	v_subb_co_u32_e32 v2, vcc, v6, v3, vcc
	v_subrev_co_u32_e32 v3, vcc, 11, v0
	v_subbrev_co_u32_e32 v4, vcc, 0, v2, vcc
	v_cmp_lt_u32_e32 vcc, 10, v3
	v_cndmask_b32_e64 v5, 0, -1, vcc
	v_cmp_eq_u32_e32 vcc, 0, v4
	v_cndmask_b32_e32 v4, -1, v5, vcc
	v_add_u32_e32 v5, -11, v3
	v_cmp_ne_u32_e32 vcc, 0, v4
	v_cndmask_b32_e32 v3, v3, v5, vcc
	v_cmp_lt_u32_e32 vcc, 10, v0
	v_cndmask_b32_e64 v4, 0, -1, vcc
	v_cmp_eq_u32_e32 vcc, 0, v2
	v_cndmask_b32_e32 v2, -1, v4, vcc
	v_cmp_ne_u32_e32 vcc, 0, v2
	v_cndmask_b32_e32 v0, v0, v3, vcc
	v_mul_u32_u24_e32 v0, 0x79, v0
	v_lshlrev_b32_e32 v0, 2, v0
	v_lshlrev_b32_e32 v2, 2, v25
	v_add3_u32 v8, 0, v2, v0
	v_add3_u32 v11, 0, v0, v2
	v_mad_u64_u32 v[2:3], s[6:7], v25, 40, v[8:9]
	ds_read_b32 v3, v11
	ds_read2_b32 v[6:7], v8 offset0:11 offset1:22
	ds_read2_b32 v[14:15], v8 offset0:33 offset1:44
	;; [unrolled: 1-line block ×5, first 2 shown]
	s_waitcnt lgkmcnt(4)
	v_pk_add_f16 v0, v3, v6
	s_movk_i32 s6, 0x3abb
	s_mov_b32 s7, 0x3abb36a6
	s_mov_b32 s12, 0xbbeb
	s_waitcnt lgkmcnt(0)
	v_pk_add_f16 v4, v6, v13 neg_lo:[0,1] neg_hi:[0,1]
	v_pk_add_f16 v5, v13, v6
	v_mul_f16_sdwa v6, v4, s15 dst_sel:DWORD dst_unused:UNUSED_PAD src0_sel:WORD_1 src1_sel:DWORD
	v_fma_f16 v9, v5, s6, -v6
	v_add_f16_e32 v10, v3, v9
	v_pk_mul_f16 v9, v5, s7
	s_mov_b32 s7, 0xbb47b853
	v_pk_fma_f16 v30, v4, s7, v9 op_sel:[0,0,1] op_sel_hi:[1,1,0] neg_lo:[1,0,0] neg_hi:[1,0,0]
	v_pk_fma_f16 v9, v4, s7, v9 op_sel:[0,0,1] op_sel_hi:[1,1,0]
	v_bfi_b32 v16, s11, v9, v30
	v_lshrrev_b32_e32 v31, 16, v5
	v_mul_f16_e32 v32, 0xbb47, v4
	s_movk_i32 s7, 0x36a6
	v_alignbit_b32 v9, s0, v9, 16
	v_pk_add_f16 v34, v3, v9
	v_fma_f16 v9, v31, s7, -v32
	v_pk_add_f16 v0, v0, v7
	v_fma_f16 v33, v31, s7, v32
	v_add_f16_sdwa v32, v3, v9 dst_sel:DWORD dst_unused:UNUSED_PAD src0_sel:WORD_1 src1_sel:DWORD
	v_mul_f16_sdwa v9, v4, s12 dst_sel:DWORD dst_unused:UNUSED_PAD src0_sel:WORD_1 src1_sel:DWORD
	s_mov_b32 s8, 0xb08e
	v_pk_add_f16 v0, v0, v14
	v_fma_f16 v35, v5, s8, -v9
	v_mul_f16_e32 v36, 0xbbeb, v4
	v_fma_f16 v9, v5, s8, v9
	v_pk_add_f16 v0, v0, v15
	v_add_f16_e32 v38, v3, v9
	v_fma_f16 v9, v31, s8, -v36
	s_mov_b32 s13, 0xba0c
	v_pk_add_f16 v0, v0, v28
	v_fma_f16 v37, v31, s8, v36
	v_add_f16_sdwa v36, v3, v9 dst_sel:DWORD dst_unused:UNUSED_PAD src0_sel:WORD_1 src1_sel:DWORD
	v_mul_f16_sdwa v9, v4, s13 dst_sel:DWORD dst_unused:UNUSED_PAD src0_sel:WORD_1 src1_sel:DWORD
	s_mov_b32 s9, 0xb93d
	v_pk_add_f16 v0, v0, v29
	v_fma_f16 v39, v5, s9, -v9
	v_mul_f16_e32 v40, 0xba0c, v4
	v_fma_f16 v9, v5, s9, v9
	v_pk_add_f16 v0, v0, v17
	v_add_f16_e32 v42, v3, v9
	v_fma_f16 v9, v31, s9, -v40
	v_pk_add_f16 v0, v0, v18
	s_mov_b32 s10, 0xbb47
	v_fma_f16 v41, v31, s9, v40
	v_add_f16_sdwa v31, v3, v9 dst_sel:DWORD dst_unused:UNUSED_PAD src0_sel:WORD_1 src1_sel:DWORD
	v_pk_add_f16 v9, v12, v7
	v_pk_add_f16 v7, v7, v12 neg_lo:[0,1] neg_hi:[0,1]
	v_pk_add_f16 v0, v0, v12
	v_fma_f16 v6, v5, s6, v6
	v_mul_f16_sdwa v12, v7, s10 dst_sel:DWORD dst_unused:UNUSED_PAD src0_sel:WORD_1 src1_sel:DWORD
	v_pk_add_f16 v0, v0, v13
	v_add_f16_e32 v13, v3, v6
	v_fma_f16 v40, v9, s7, -v12
	v_fma_f16 v12, v9, s7, v12
	s_mov_b32 s10, 0x36a6b93d
	v_add_f16_e32 v10, v40, v10
	v_add_f16_e32 v40, v12, v13
	v_pk_mul_f16 v12, v9, s10
	s_mov_b32 s10, 0xba0cbb47
	v_pk_fma_f16 v43, v7, s10, v12 op_sel:[0,0,1] op_sel_hi:[1,1,0] neg_lo:[1,0,0] neg_hi:[1,0,0]
	v_pk_fma_f16 v12, v7, s10, v12 op_sel:[0,0,1] op_sel_hi:[1,1,0]
	v_pk_add_f16 v16, v3, v16 op_sel:[1,0] op_sel_hi:[0,1]
	v_bfi_b32 v13, s11, v12, v43
	v_pk_add_f16 v16, v13, v16
	v_lshrrev_b32_e32 v13, 16, v9
	v_mul_f16_e32 v44, 0xba0c, v7
	v_alignbit_b32 v12, s0, v12, 16
	v_pk_add_f16 v34, v12, v34
	v_fma_f16 v12, v13, s9, -v44
	s_movk_i32 s10, 0x3482
	v_add_f16_e32 v32, v12, v32
	v_mul_f16_sdwa v12, v7, s10 dst_sel:DWORD dst_unused:UNUSED_PAD src0_sel:WORD_1 src1_sel:DWORD
	s_mov_b32 s10, 0xbbad
	v_add_f16_e32 v35, v3, v35
	v_fma_f16 v45, v13, s9, v44
	v_fma_f16 v44, v9, s10, -v12
	v_add_f16_e32 v35, v44, v35
	v_mul_f16_e32 v44, 0x3482, v7
	v_fma_f16 v12, v9, s10, v12
	v_add_f16_e32 v38, v12, v38
	v_fma_f16 v12, v13, s10, -v44
	s_movk_i32 s14, 0x3beb
	v_add_f16_sdwa v33, v3, v33 dst_sel:DWORD dst_unused:UNUSED_PAD src0_sel:WORD_1 src1_sel:DWORD
	v_add_f16_e32 v36, v12, v36
	v_mul_f16_sdwa v12, v7, s14 dst_sel:DWORD dst_unused:UNUSED_PAD src0_sel:WORD_1 src1_sel:DWORD
	v_add_f16_e32 v39, v3, v39
	v_add_f16_e32 v33, v45, v33
	v_fma_f16 v45, v13, s10, v44
	v_fma_f16 v44, v9, s8, -v12
	v_add_f16_e32 v39, v44, v39
	v_mul_f16_e32 v44, 0x3beb, v7
	v_fma_f16 v12, v9, s8, v12
	v_add_f16_e32 v42, v12, v42
	v_fma_f16 v12, v13, s8, -v44
	v_add_f16_sdwa v37, v3, v37 dst_sel:DWORD dst_unused:UNUSED_PAD src0_sel:WORD_1 src1_sel:DWORD
	v_add_f16_e32 v31, v12, v31
	v_pk_add_f16 v12, v14, v18 neg_lo:[0,1] neg_hi:[0,1]
	v_add_f16_e32 v37, v45, v37
	v_fma_f16 v45, v13, s8, v44
	v_pk_add_f16 v13, v18, v14
	v_mul_f16_sdwa v14, v12, s12 dst_sel:DWORD dst_unused:UNUSED_PAD src0_sel:WORD_1 src1_sel:DWORD
	v_fma_f16 v18, v13, s8, -v14
	v_add_f16_e32 v18, v18, v10
	v_fma_f16 v10, v13, s8, v14
	s_mov_b32 s14, 0xb08ebbad
	v_add_f16_e32 v40, v10, v40
	v_pk_mul_f16 v10, v13, s14
	s_mov_b32 s14, 0x3482bbeb
	v_pk_fma_f16 v44, v12, s14, v10 op_sel:[0,0,1] op_sel_hi:[1,1,0] neg_lo:[1,0,0] neg_hi:[1,0,0]
	v_pk_fma_f16 v10, v12, s14, v10 op_sel:[0,0,1] op_sel_hi:[1,1,0]
	v_add_f16_sdwa v41, v3, v41 dst_sel:DWORD dst_unused:UNUSED_PAD src0_sel:WORD_1 src1_sel:DWORD
	v_bfi_b32 v14, s11, v10, v44
	v_add_f16_e32 v41, v45, v41
	v_pk_add_f16 v45, v14, v16
	v_lshrrev_b32_e32 v16, 16, v13
	v_mul_f16_e32 v14, 0x3482, v12
	v_fma_f16 v46, v16, s10, v14
	v_fma_f16 v14, v16, s10, -v14
	s_movk_i32 s14, 0x3b47
	v_alignbit_b32 v10, s0, v10, 16
	v_add_f16_e32 v32, v14, v32
	v_mul_f16_sdwa v14, v12, s14 dst_sel:DWORD dst_unused:UNUSED_PAD src0_sel:WORD_1 src1_sel:DWORD
	v_pk_add_f16 v10, v10, v34
	v_fma_f16 v34, v13, s7, -v14
	v_add_f16_e32 v34, v34, v35
	v_mul_f16_e32 v35, 0x3b47, v12
	v_fma_f16 v14, v13, s7, v14
	v_add_f16_e32 v33, v46, v33
	v_fma_f16 v46, v16, s7, v35
	v_add_f16_e32 v38, v14, v38
	v_fma_f16 v14, v16, s7, -v35
	v_mul_f16_sdwa v35, v12, s15 dst_sel:DWORD dst_unused:UNUSED_PAD src0_sel:WORD_1 src1_sel:DWORD
	v_add_f16_e32 v14, v14, v36
	v_fma_f16 v36, v13, s6, -v35
	v_add_f16_e32 v36, v36, v39
	v_mul_f16_e32 v39, 0xb853, v12
	v_add_f16_e32 v37, v46, v37
	v_fma_f16 v46, v16, s6, v39
	v_fma_f16 v16, v16, s6, -v39
	v_add_f16_e32 v31, v16, v31
	v_pk_add_f16 v16, v17, v15
	v_pk_add_f16 v15, v15, v17 neg_lo:[0,1] neg_hi:[0,1]
	v_mul_f16_sdwa v17, v15, s13 dst_sel:DWORD dst_unused:UNUSED_PAD src0_sel:WORD_1 src1_sel:DWORD
	v_fma_f16 v39, v16, s9, -v17
	v_fma_f16 v17, v16, s9, v17
	s_mov_b32 s22, 0xb93db08e
	v_add_f16_e32 v18, v39, v18
	v_add_f16_e32 v39, v17, v40
	v_pk_mul_f16 v17, v16, s22
	s_mov_b32 s22, 0x3bebba0c
	v_fma_f16 v35, v13, s6, v35
	v_pk_fma_f16 v40, v15, s22, v17 op_sel:[0,0,1] op_sel_hi:[1,1,0] neg_lo:[1,0,0] neg_hi:[1,0,0]
	v_pk_fma_f16 v17, v15, s22, v17 op_sel:[0,0,1] op_sel_hi:[1,1,0]
	v_add_f16_e32 v35, v35, v42
	v_bfi_b32 v42, s11, v17, v40
	v_add_f16_e32 v41, v46, v41
	v_pk_add_f16 v42, v42, v45
	v_lshrrev_b32_e32 v45, 16, v16
	v_mul_f16_e32 v46, 0x3beb, v15
	v_fma_f16 v47, v45, s8, v46
	v_fma_f16 v46, v45, s8, -v46
	v_add_f16_e32 v32, v46, v32
	v_mul_f16_sdwa v46, v15, s15 dst_sel:DWORD dst_unused:UNUSED_PAD src0_sel:WORD_1 src1_sel:DWORD
	v_add_f16_e32 v33, v47, v33
	v_fma_f16 v47, v16, s6, -v46
	v_add_f16_e32 v34, v47, v34
	v_mul_f16_e32 v47, 0xb853, v15
	v_fma_f16 v46, v16, s6, v46
	s_mov_b32 s15, 0xb482
	v_fma_f16 v48, v45, s6, v47
	v_add_f16_e32 v38, v46, v38
	v_fma_f16 v46, v45, s6, -v47
	v_mul_f16_sdwa v47, v15, s15 dst_sel:DWORD dst_unused:UNUSED_PAD src0_sel:WORD_1 src1_sel:DWORD
	v_add_f16_e32 v37, v48, v37
	v_fma_f16 v48, v16, s10, -v47
	v_add_f16_e32 v36, v48, v36
	v_mul_f16_e32 v48, 0xb482, v15
	v_fma_f16 v49, v45, s10, v48
	v_fma_f16 v45, v45, s10, -v48
	v_add_f16_e32 v31, v45, v31
	v_pk_add_f16 v45, v29, v28
	v_pk_add_f16 v28, v28, v29 neg_lo:[0,1] neg_hi:[0,1]
	v_fma_f16 v47, v16, s10, v47
	v_mul_f16_sdwa v29, v28, s15 dst_sel:DWORD dst_unused:UNUSED_PAD src0_sel:WORD_1 src1_sel:DWORD
	v_add_f16_sdwa v30, v3, v30 dst_sel:DWORD dst_unused:UNUSED_PAD src0_sel:WORD_1 src1_sel:DWORD
	v_add_f16_e32 v35, v47, v35
	v_fma_f16 v47, v45, s10, -v29
	v_fma_f16 v29, v45, s10, v29
	s_mov_b32 s22, 0xbbad3abb
	v_add_f16_e32 v30, v43, v30
	v_add_f16_e32 v29, v29, v39
	v_pk_mul_f16 v39, v45, s22
	s_mov_b32 s22, 0x3853b482
	v_add_f16_e32 v30, v44, v30
	v_pk_fma_f16 v48, v28, s22, v39 op_sel:[0,0,1] op_sel_hi:[1,1,0] neg_lo:[1,0,0] neg_hi:[1,0,0]
	v_add_f16_e32 v30, v40, v30
	v_pk_fma_f16 v40, v28, s22, v39 op_sel:[0,0,1] op_sel_hi:[1,1,0]
	v_bfi_b32 v40, s11, v40, v48
	v_pk_add_f16 v40, v40, v42
	v_lshrrev_b32_e32 v42, 16, v45
	v_mul_f16_e32 v43, 0x3853, v28
	v_fma_f16 v44, v42, s6, v43
	v_fma_f16 v43, v42, s6, -v43
	v_add_f16_e32 v32, v43, v32
	v_mul_f16_sdwa v43, v28, s13 dst_sel:DWORD dst_unused:UNUSED_PAD src0_sel:WORD_1 src1_sel:DWORD
	v_add_f16_e32 v33, v44, v33
	v_fma_f16 v44, v45, s9, -v43
	v_add_f16_e32 v34, v44, v34
	v_mul_f16_e32 v44, 0xb93d, v42
	v_fma_f16 v43, v45, s9, v43
	v_add_f16_e32 v41, v49, v41
	v_fma_f16 v49, v28, s13, v44
	v_add_f16_e32 v38, v43, v38
	v_mul_f16_sdwa v43, v28, s14 dst_sel:DWORD dst_unused:UNUSED_PAD src0_sel:WORD_1 src1_sel:DWORD
	v_add_f16_e32 v37, v49, v37
	v_fma_f16 v49, v45, s7, -v43
	v_add_f16_e32 v36, v49, v36
	v_mul_f16_e32 v49, 0x3b47, v28
	v_add_f16_e32 v18, v47, v18
	v_fma_f16 v50, v42, s7, v49
	v_add_f16_e32 v41, v50, v41
	v_alignbit_b32 v33, v33, v40, 16
	v_pack_b32_f16 v18, v18, v40
	s_barrier
	ds_write2_b32 v2, v18, v33 offset0:1 offset1:2
	v_pack_b32_f16 v18, v36, v41
	v_pack_b32_f16 v33, v34, v37
	v_pk_mul_f16 v5, v5, s10 op_sel_hi:[1,0]
	ds_write2_b32 v2, v33, v18 offset0:3 offset1:4
	v_pk_fma_f16 v18, v4, s15, v5 op_sel:[0,0,1] op_sel_hi:[1,0,0] neg_lo:[1,0,0] neg_hi:[1,0,0]
	v_alignbit_b32 v6, s0, v3, 16
	v_pk_mul_f16 v47, v28, s22
	s_movk_i32 s22, 0x3853
	v_alignbit_b32 v33, s0, v18, 16
	v_pk_fma_f16 v4, v4, s15, v5 op_sel:[0,0,1] op_sel_hi:[1,0,0]
	v_pk_mul_f16 v5, v9, s6 op_sel_hi:[1,0]
	v_pk_add_f16 v33, v3, v33
	v_pk_add_f16 v3, v3, v4 op_sel:[1,0] op_sel_hi:[0,1]
	v_pk_add_f16 v4, v6, v18
	v_pk_fma_f16 v6, v7, s22, v5 op_sel:[0,0,1] op_sel_hi:[1,0,0] neg_lo:[1,0,0] neg_hi:[1,0,0]
	v_pk_fma_f16 v5, v7, s22, v5 op_sel:[0,0,1] op_sel_hi:[1,0,0]
	v_pk_add_f16 v3, v5, v3
	v_pk_mul_f16 v5, v13, s9 op_sel_hi:[1,0]
	v_alignbit_b32 v9, s0, v6, 16
	v_pk_add_f16 v4, v6, v4
	v_pk_fma_f16 v6, v12, s13, v5 op_sel:[0,0,1] op_sel_hi:[1,0,0] neg_lo:[1,0,0] neg_hi:[1,0,0]
	v_pk_fma_f16 v5, v12, s13, v5 op_sel:[0,0,1] op_sel_hi:[1,0,0]
	v_pk_add_f16 v3, v5, v3
	v_pk_mul_f16 v5, v16, s7 op_sel_hi:[1,0]
	v_alignbit_b32 v7, s0, v6, 16
	v_pk_add_f16 v4, v6, v4
	v_pk_fma_f16 v6, v15, s14, v5 op_sel:[0,0,1] op_sel_hi:[1,0,0] neg_lo:[1,0,0] neg_hi:[1,0,0]
	v_pk_fma_f16 v5, v15, s14, v5 op_sel:[0,0,1] op_sel_hi:[1,0,0]
	v_pk_add_f16 v9, v9, v33
	v_pk_add_f16 v3, v5, v3
	v_pk_mul_f16 v5, v45, s8 op_sel_hi:[1,0]
	v_pk_add_f16 v7, v7, v9
	v_alignbit_b32 v9, s0, v6, 16
	v_pk_add_f16 v4, v6, v4
	v_pk_fma_f16 v6, v28, s12, v5 op_sel:[0,0,1] op_sel_hi:[1,0,0] neg_lo:[1,0,0] neg_hi:[1,0,0]
	v_pk_add_f16 v7, v9, v7
	v_alignbit_b32 v9, s0, v6, 16
	v_pk_fma_f16 v5, v28, s12, v5 op_sel:[0,0,1] op_sel_hi:[1,0,0]
	v_fma_f16 v43, v45, s7, v43
	v_fma_f16 v42, v42, s7, -v49
	v_pk_add_f16 v7, v9, v7
	v_pk_add_f16 v3, v5, v3
	;; [unrolled: 1-line block ×3, first 2 shown]
	v_add_f16_e32 v35, v43, v35
	v_add_f16_e32 v31, v42, v31
	v_alignbit_b32 v4, v4, v3, 16
	v_pack_b32_f16 v3, v7, v3
	ds_write2_b32 v2, v3, v4 offset0:5 offset1:6
	v_pack_b32_f16 v3, v35, v31
	ds_write2_b32 v2, v0, v3 offset1:7
	v_pack_b32_f16 v0, v46, v39
	v_bfi_b32 v3, s11, v14, v47
	v_add_f16_e32 v30, v48, v30
	v_mul_f16_e32 v48, 0xba0c, v28
	v_pk_add_f16 v0, v0, v3
	v_lshlrev_b32_e32 v3, 16, v10
	v_pk_add_f16 v4, v44, v48 neg_lo:[0,1] neg_hi:[0,1]
	v_pk_add_f16 v3, v17, v3
	v_bfi_b32 v3, s11, v4, v3
	v_pk_add_f16 v0, v3, v0
	v_alignbit_b32 v3, v32, v0, 16
	v_pack_b32_f16 v0, v38, v0
	ds_write2_b32 v2, v0, v3 offset0:8 offset1:9
	v_pack_b32_f16 v0, v29, v30
	ds_write_b32 v2, v0 offset:40
	v_mul_lo_u32 v0, v25, 10
	v_mov_b32_e32 v2, s21
	s_waitcnt lgkmcnt(0)
	s_barrier
	v_lshlrev_b64 v[0:1], 2, v[0:1]
	v_add_co_u32_e32 v12, vcc, s20, v0
	v_addc_co_u32_e32 v13, vcc, v2, v1, vcc
	global_load_dwordx4 v[4:7], v[12:13], off
	global_load_dwordx4 v[0:3], v[12:13], off offset:16
	global_load_dwordx2 v[9:10], v[12:13], off offset:32
	ds_read_b32 v28, v11
	ds_read2_b32 v[15:16], v8 offset0:55 offset1:66
	ds_read2_b32 v[13:14], v8 offset0:77 offset1:88
	;; [unrolled: 1-line block ×5, first 2 shown]
	v_mul_lo_u32 v46, v27, 11
	ds_read_u16 v47, v8 offset:222
	s_waitcnt lgkmcnt(3)
	v_lshrrev_b32_e32 v32, 16, v29
	s_add_i32 s11, 0, 0x14cc
	s_waitcnt lgkmcnt(1)
	v_lshrrev_b32_e32 v38, 16, v18
	v_lshrrev_b32_e32 v37, 16, v16
	;; [unrolled: 1-line block ×6, first 2 shown]
	s_waitcnt vmcnt(2)
	v_mul_f16_sdwa v31, v4, v32 dst_sel:DWORD dst_unused:UNUSED_PAD src0_sel:WORD_1 src1_sel:DWORD
	v_fma_f16 v31, v4, v29, -v31
	v_mul_f16_sdwa v29, v4, v29 dst_sel:DWORD dst_unused:UNUSED_PAD src0_sel:WORD_1 src1_sel:DWORD
	v_fma_f16 v32, v4, v32, v29
	v_lshrrev_b32_e32 v4, 16, v30
	v_mul_f16_sdwa v29, v5, v4 dst_sel:DWORD dst_unused:UNUSED_PAD src0_sel:WORD_1 src1_sel:DWORD
	v_fma_f16 v29, v5, v30, -v29
	v_mul_f16_sdwa v30, v5, v30 dst_sel:DWORD dst_unused:UNUSED_PAD src0_sel:WORD_1 src1_sel:DWORD
	v_fma_f16 v30, v5, v4, v30
	v_lshrrev_b32_e32 v4, 16, v17
	v_mul_f16_sdwa v5, v6, v4 dst_sel:DWORD dst_unused:UNUSED_PAD src0_sel:WORD_1 src1_sel:DWORD
	v_fma_f16 v5, v6, v17, -v5
	v_mul_f16_sdwa v17, v6, v17 dst_sel:DWORD dst_unused:UNUSED_PAD src0_sel:WORD_1 src1_sel:DWORD
	v_fma_f16 v6, v6, v4, v17
	v_mul_lo_u32 v17, v25, v27
	v_mul_f16_sdwa v4, v7, v38 dst_sel:DWORD dst_unused:UNUSED_PAD src0_sel:WORD_1 src1_sel:DWORD
	v_fma_f16 v4, v7, v18, -v4
	v_mul_f16_sdwa v18, v7, v18 dst_sel:DWORD dst_unused:UNUSED_PAD src0_sel:WORD_1 src1_sel:DWORD
	v_fma_f16 v39, v7, v38, v18
	v_add_u32_e32 v18, v17, v46
	v_add_u32_e32 v27, v18, v46
	;; [unrolled: 1-line block ×10, first 2 shown]
	v_lshrrev_b32_e32 v7, 10, v46
	v_and_b32_e32 v7, 0xfc, v7
	v_add_u32_e32 v7, s11, v7
	ds_read_b32 v7, v7 offset:512
	s_waitcnt vmcnt(1) lgkmcnt(1)
	v_mul_f16_sdwa v48, v47, v0 dst_sel:DWORD dst_unused:UNUSED_PAD src0_sel:DWORD src1_sel:WORD_1
	v_fma_f16 v48, v0, v15, -v48
	v_mul_f16_sdwa v15, v0, v15 dst_sel:DWORD dst_unused:UNUSED_PAD src0_sel:WORD_1 src1_sel:DWORD
	v_fma_f16 v0, v47, v0, v15
	v_mul_f16_sdwa v15, v37, v1 dst_sel:DWORD dst_unused:UNUSED_PAD src0_sel:DWORD src1_sel:WORD_1
	v_fma_f16 v15, v16, v1, -v15
	v_mul_f16_sdwa v16, v16, v1 dst_sel:DWORD dst_unused:UNUSED_PAD src0_sel:DWORD src1_sel:WORD_1
	v_fma_f16 v1, v37, v1, v16
	v_mul_f16_sdwa v16, v36, v2 dst_sel:DWORD dst_unused:UNUSED_PAD src0_sel:DWORD src1_sel:WORD_1
	v_fma_f16 v16, v13, v2, -v16
	v_mul_f16_sdwa v13, v13, v2 dst_sel:DWORD dst_unused:UNUSED_PAD src0_sel:DWORD src1_sel:WORD_1
	v_fma_f16 v2, v36, v2, v13
	v_mul_f16_sdwa v13, v35, v3 dst_sel:DWORD dst_unused:UNUSED_PAD src0_sel:DWORD src1_sel:WORD_1
	v_fma_f16 v13, v14, v3, -v13
	v_mul_f16_sdwa v14, v14, v3 dst_sel:DWORD dst_unused:UNUSED_PAD src0_sel:DWORD src1_sel:WORD_1
	v_fma_f16 v3, v35, v3, v14
	s_waitcnt vmcnt(0)
	v_mul_f16_sdwa v14, v34, v9 dst_sel:DWORD dst_unused:UNUSED_PAD src0_sel:DWORD src1_sel:WORD_1
	v_fma_f16 v14, v11, v9, -v14
	v_mul_f16_sdwa v11, v11, v9 dst_sel:DWORD dst_unused:UNUSED_PAD src0_sel:DWORD src1_sel:WORD_1
	v_fma_f16 v9, v34, v9, v11
	v_mul_f16_sdwa v11, v33, v10 dst_sel:DWORD dst_unused:UNUSED_PAD src0_sel:DWORD src1_sel:WORD_1
	v_fma_f16 v11, v12, v10, -v11
	v_mul_f16_sdwa v12, v12, v10 dst_sel:DWORD dst_unused:UNUSED_PAD src0_sel:DWORD src1_sel:WORD_1
	v_fma_f16 v10, v33, v10, v12
	v_add_f16_e32 v12, v31, v28
	v_add_f16_sdwa v33, v32, v28 dst_sel:DWORD dst_unused:UNUSED_PAD src0_sel:DWORD src1_sel:WORD_1
	v_add_f16_e32 v12, v12, v29
	v_add_f16_e32 v33, v33, v30
	;; [unrolled: 1-line block ×20, first 2 shown]
	v_sub_f16_e32 v11, v31, v11
	v_sub_f16_e32 v10, v32, v10
	v_mul_f16_e32 v31, 0xb853, v10
	v_mul_f16_e32 v36, 0xb853, v11
	v_mul_f16_e32 v47, 0xbb47, v10
	v_mul_f16_e32 v50, 0xbb47, v11
	v_mul_f16_e32 v52, 0xbbeb, v10
	v_mul_f16_e32 v54, 0xbbeb, v11
	v_mul_f16_e32 v56, 0xba0c, v10
	v_mul_f16_e32 v58, 0xba0c, v11
	v_mul_f16_e32 v10, 0xb482, v10
	v_mul_f16_e32 v11, 0xb482, v11
	v_fma_f16 v32, v34, s6, -v31
	v_fma_f16 v37, v35, s6, v36
	v_fma_f16 v31, v34, s6, v31
	v_fma_f16 v36, v35, s6, -v36
	v_fma_f16 v49, v34, s7, -v47
	v_fma_f16 v51, v35, s7, v50
	v_fma_f16 v47, v34, s7, v47
	v_fma_f16 v50, v35, s7, -v50
	;; [unrolled: 4-line block ×5, first 2 shown]
	v_add_f16_e32 v34, v30, v9
	v_sub_f16_e32 v9, v30, v9
	v_add_f16_e32 v32, v32, v28
	v_add_f16_sdwa v37, v37, v28 dst_sel:DWORD dst_unused:UNUSED_PAD src0_sel:DWORD src1_sel:WORD_1
	v_add_f16_e32 v31, v31, v28
	v_add_f16_sdwa v36, v36, v28 dst_sel:DWORD dst_unused:UNUSED_PAD src0_sel:DWORD src1_sel:WORD_1
	;; [unrolled: 2-line block ×10, first 2 shown]
	v_add_f16_e32 v28, v29, v14
	v_sub_f16_e32 v14, v29, v14
	v_mul_f16_e32 v29, 0xbb47, v9
	v_fma_f16 v30, v28, s7, -v29
	v_add_f16_e32 v30, v30, v32
	v_mul_f16_e32 v32, 0xbb47, v14
	v_fma_f16 v29, v28, s7, v29
	v_fma_f16 v35, v34, s7, v32
	v_add_f16_e32 v29, v29, v31
	v_fma_f16 v31, v34, s7, -v32
	v_mul_f16_e32 v32, 0xba0c, v9
	v_add_f16_e32 v35, v35, v37
	v_add_f16_e32 v31, v31, v36
	v_fma_f16 v36, v28, s9, -v32
	v_mul_f16_e32 v37, 0xba0c, v14
	v_fma_f16 v32, v28, s9, v32
	v_add_f16_e32 v36, v36, v49
	v_fma_f16 v49, v34, s9, v37
	v_add_f16_e32 v32, v32, v47
	v_fma_f16 v37, v34, s9, -v37
	v_mul_f16_e32 v47, 0x3482, v9
	v_add_f16_e32 v49, v49, v51
	v_add_f16_e32 v37, v37, v50
	v_fma_f16 v50, v28, s10, -v47
	v_mul_f16_e32 v51, 0x3482, v14
	v_fma_f16 v47, v28, s10, v47
	v_add_f16_e32 v50, v50, v53
	v_fma_f16 v53, v34, s10, v51
	v_add_f16_e32 v47, v47, v52
	v_fma_f16 v51, v34, s10, -v51
	v_mul_f16_e32 v52, 0x3beb, v9
	v_add_f16_e32 v53, v53, v55
	v_add_f16_e32 v51, v51, v54
	v_fma_f16 v54, v28, s8, -v52
	v_mul_f16_e32 v55, 0x3beb, v14
	v_fma_f16 v52, v28, s8, v52
	v_mul_f16_e32 v9, 0x3853, v9
	v_add_f16_e32 v54, v54, v57
	v_fma_f16 v57, v34, s8, v55
	v_add_f16_e32 v52, v52, v56
	v_fma_f16 v55, v34, s8, -v55
	v_fma_f16 v56, v28, s6, -v9
	v_mul_f16_e32 v14, 0x3853, v14
	v_fma_f16 v9, v28, s6, v9
	v_add_f16_e32 v55, v55, v58
	v_fma_f16 v58, v34, s6, v14
	v_add_f16_e32 v9, v9, v10
	v_fma_f16 v10, v34, s6, -v14
	v_add_f16_e32 v14, v6, v3
	v_sub_f16_e32 v3, v6, v3
	v_add_f16_e32 v10, v10, v11
	v_add_f16_e32 v11, v5, v13
	v_sub_f16_e32 v5, v5, v13
	v_mul_f16_e32 v6, 0xbbeb, v3
	v_fma_f16 v13, v11, s8, -v6
	v_mul_f16_e32 v28, 0xbbeb, v5
	v_fma_f16 v6, v11, s8, v6
	v_add_f16_e32 v13, v13, v30
	v_fma_f16 v30, v14, s8, v28
	v_add_f16_e32 v6, v6, v29
	v_fma_f16 v28, v14, s8, -v28
	v_mul_f16_e32 v29, 0x3482, v3
	v_add_f16_e32 v28, v28, v31
	v_fma_f16 v31, v11, s10, -v29
	v_mul_f16_e32 v34, 0x3482, v5
	v_fma_f16 v29, v11, s10, v29
	v_add_f16_e32 v30, v30, v35
	v_fma_f16 v35, v14, s10, v34
	v_add_f16_e32 v29, v29, v32
	v_fma_f16 v32, v14, s10, -v34
	v_mul_f16_e32 v34, 0x3b47, v3
	v_add_f16_e32 v31, v31, v36
	v_add_f16_e32 v32, v32, v37
	v_fma_f16 v36, v11, s7, -v34
	v_mul_f16_e32 v37, 0x3b47, v5
	v_fma_f16 v34, v11, s7, v34
	v_add_f16_e32 v35, v35, v49
	v_fma_f16 v49, v14, s7, v37
	v_add_f16_e32 v34, v34, v47
	v_fma_f16 v37, v14, s7, -v37
	v_mul_f16_e32 v47, 0xb853, v3
	v_add_f16_e32 v36, v36, v50
	v_add_f16_e32 v37, v37, v51
	v_fma_f16 v50, v11, s6, -v47
	v_mul_f16_e32 v51, 0xb853, v5
	v_mul_f16_e32 v5, 0xba0c, v5
	v_add_f16_e32 v50, v50, v54
	v_fma_f16 v47, v11, s6, v47
	v_mul_f16_e32 v3, 0xba0c, v3
	v_fma_f16 v54, v14, s9, v5
	v_fma_f16 v5, v14, s9, -v5
	v_add_f16_e32 v47, v47, v52
	v_fma_f16 v52, v11, s9, -v3
	v_fma_f16 v3, v11, s9, v3
	v_add_f16_e32 v5, v5, v10
	v_add_f16_e32 v10, v39, v2
	v_sub_f16_e32 v2, v39, v2
	v_add_f16_e32 v3, v3, v9
	v_add_f16_e32 v9, v4, v16
	v_mul_f16_e32 v11, 0xba0c, v2
	v_add_f16_e32 v49, v49, v53
	v_fma_f16 v53, v14, s6, v51
	v_fma_f16 v51, v14, s6, -v51
	v_sub_f16_e32 v4, v4, v16
	v_fma_f16 v14, v9, s9, -v11
	v_add_f16_e32 v13, v14, v13
	v_mul_f16_e32 v14, 0xba0c, v4
	v_fma_f16 v11, v9, s9, v11
	v_fma_f16 v16, v10, s9, v14
	v_add_f16_e32 v6, v11, v6
	v_fma_f16 v11, v10, s9, -v14
	v_mul_f16_e32 v14, 0x3beb, v2
	v_add_f16_e32 v16, v16, v30
	v_add_f16_e32 v11, v11, v28
	v_fma_f16 v28, v9, s8, -v14
	v_mul_f16_e32 v30, 0x3beb, v4
	v_fma_f16 v14, v9, s8, v14
	v_add_f16_e32 v28, v28, v31
	v_fma_f16 v31, v10, s8, v30
	v_add_f16_e32 v14, v14, v29
	v_fma_f16 v29, v10, s8, -v30
	v_mul_f16_e32 v30, 0xb853, v2
	v_add_f16_e32 v31, v31, v35
	v_add_f16_e32 v29, v29, v32
	v_fma_f16 v32, v9, s6, -v30
	v_mul_f16_e32 v35, 0xb853, v4
	v_fma_f16 v30, v9, s6, v30
	v_add_f16_e32 v32, v32, v36
	v_fma_f16 v36, v10, s6, v35
	v_add_f16_e32 v30, v30, v34
	v_fma_f16 v34, v10, s6, -v35
	v_mul_f16_e32 v35, 0xb482, v2
	v_add_f16_e32 v34, v34, v37
	v_fma_f16 v37, v9, s10, -v35
	v_fma_f16 v35, v9, s10, v35
	v_mul_f16_e32 v2, 0x3b47, v2
	v_mul_f16_e32 v39, 0xb482, v4
	v_add_f16_e32 v35, v35, v47
	v_fma_f16 v47, v9, s7, -v2
	v_mul_f16_e32 v4, 0x3b47, v4
	v_fma_f16 v2, v9, s7, v2
	v_add_f16_e32 v36, v36, v49
	v_add_f16_e32 v37, v37, v50
	v_fma_f16 v49, v10, s10, v39
	v_fma_f16 v39, v10, s10, -v39
	v_fma_f16 v50, v10, s7, v4
	v_add_f16_e32 v2, v2, v3
	v_fma_f16 v3, v10, s7, -v4
	v_sub_f16_e32 v10, v0, v1
	v_add_f16_e32 v3, v3, v5
	v_add_f16_e32 v4, v48, v15
	;; [unrolled: 1-line block ×3, first 2 shown]
	v_mul_f16_e32 v0, 0xb482, v10
	v_sub_f16_e32 v9, v48, v15
	v_fma_f16 v1, v4, s10, -v0
	v_add_f16_e32 v13, v1, v13
	v_mul_f16_e32 v1, 0xb482, v9
	v_fma_f16 v0, v4, s10, v0
	v_fma_f16 v15, v5, s10, v1
	v_add_f16_e32 v0, v0, v6
	v_fma_f16 v1, v5, s10, -v1
	v_mul_f16_e32 v6, 0x3853, v10
	v_add_f16_e32 v15, v15, v16
	v_add_f16_e32 v1, v1, v11
	v_fma_f16 v11, v4, s6, -v6
	v_mul_f16_e32 v16, 0x3853, v9
	v_add_f16_e32 v11, v11, v28
	v_fma_f16 v28, v5, s6, v16
	v_fma_f16 v6, v4, s6, v6
	v_add_f16_e32 v28, v28, v31
	v_add_f16_e32 v31, v6, v14
	v_fma_f16 v6, v5, s6, -v16
	v_add_f16_e32 v48, v6, v29
	v_mul_f16_e32 v6, 0xba0c, v10
	v_fma_f16 v14, v4, s9, -v6
	v_mul_f16_e32 v16, 0xba0c, v9
	v_fma_f16 v6, v4, s9, v6
	v_add_f16_e32 v30, v6, v30
	v_fma_f16 v6, v5, s9, -v16
	v_add_f16_e32 v14, v14, v32
	v_add_f16_e32 v32, v6, v34
	v_mul_f16_e32 v6, 0x3b47, v10
	v_add_f16_e32 v51, v51, v55
	v_fma_f16 v29, v5, s9, v16
	v_fma_f16 v16, v4, s7, -v6
	v_mul_f16_e32 v34, 0x3b47, v9
	v_fma_f16 v6, v4, s7, v6
	v_add_f16_e32 v56, v56, v60
	v_add_f16_e32 v39, v39, v51
	;; [unrolled: 1-line block ×3, first 2 shown]
	v_fma_f16 v6, v5, s7, -v34
	v_add_f16_e32 v57, v57, v59
	v_add_f16_e32 v52, v52, v56
	;; [unrolled: 1-line block ×3, first 2 shown]
	v_fma_f16 v36, v5, s7, v34
	v_add_f16_e32 v34, v6, v39
	v_mul_f16_e32 v6, 0xbbeb, v10
	v_add_f16_e32 v58, v58, v61
	v_add_f16_e32 v53, v53, v57
	;; [unrolled: 1-line block ×3, first 2 shown]
	v_fma_f16 v10, v4, s8, -v6
	v_mul_f16_e32 v9, 0xbbeb, v9
	v_fma_f16 v4, v4, s8, v6
	v_add_f16_e32 v54, v54, v58
	v_add_f16_e32 v49, v49, v53
	;; [unrolled: 1-line block ×5, first 2 shown]
	v_fma_f16 v2, v5, s8, -v9
	v_add_f16_e32 v50, v50, v54
	v_add_f16_e32 v36, v36, v49
	v_fma_f16 v10, v5, s8, v9
	v_add_f16_e32 v49, v2, v3
	v_and_b32_e32 v2, 63, v17
	v_lshrrev_b32_e32 v3, 4, v17
	v_lshrrev_b32_e32 v4, 10, v17
	;; [unrolled: 1-line block ×5, first 2 shown]
	v_add_f16_e32 v39, v10, v50
	v_and_b32_e32 v3, 0xfc, v3
	v_and_b32_e32 v4, 0xfc, v4
	;; [unrolled: 1-line block ×7, first 2 shown]
	v_lshl_add_u32 v2, v2, 2, 0
	v_add_u32_e32 v3, s11, v3
	v_add_u32_e32 v4, s11, v4
	v_lshl_add_u32 v5, v5, 2, 0
	v_add_u32_e32 v6, s11, v6
	v_add_u32_e32 v9, s11, v9
	v_lshl_add_u32 v10, v10, 2, 0
	v_add_u32_e32 v17, s11, v17
	ds_read_b32 v2, v2 offset:5324
	ds_read_b32 v3, v3 offset:256
	;; [unrolled: 1-line block ×8, first 2 shown]
	s_waitcnt lgkmcnt(7)
	v_lshrrev_b32_e32 v18, 16, v2
	s_waitcnt lgkmcnt(6)
	v_mul_f16_sdwa v50, v18, v3 dst_sel:DWORD dst_unused:UNUSED_PAD src0_sel:DWORD src1_sel:WORD_1
	v_fma_f16 v50, v2, v3, -v50
	v_mul_f16_sdwa v2, v2, v3 dst_sel:DWORD dst_unused:UNUSED_PAD src0_sel:DWORD src1_sel:WORD_1
	v_fma_f16 v2, v18, v3, v2
	s_waitcnt lgkmcnt(5)
	v_mul_f16_sdwa v3, v2, v4 dst_sel:DWORD dst_unused:UNUSED_PAD src0_sel:DWORD src1_sel:WORD_1
	v_mul_f16_sdwa v18, v50, v4 dst_sel:DWORD dst_unused:UNUSED_PAD src0_sel:DWORD src1_sel:WORD_1
	v_fma_f16 v3, v4, v50, -v3
	v_fma_f16 v4, v4, v2, v18
	v_mul_f16_e32 v2, v33, v4
	v_mul_f16_e32 v4, v12, v4
	v_fma_f16 v2, v12, v3, -v2
	v_fma_f16 v3, v33, v3, v4
	s_waitcnt lgkmcnt(4)
	v_lshrrev_b32_e32 v4, 16, v5
	s_waitcnt lgkmcnt(3)
	v_mul_f16_sdwa v12, v4, v6 dst_sel:DWORD dst_unused:UNUSED_PAD src0_sel:DWORD src1_sel:WORD_1
	v_fma_f16 v12, v5, v6, -v12
	v_mul_f16_sdwa v5, v5, v6 dst_sel:DWORD dst_unused:UNUSED_PAD src0_sel:DWORD src1_sel:WORD_1
	v_fma_f16 v4, v4, v6, v5
	s_waitcnt lgkmcnt(2)
	v_mul_f16_sdwa v6, v12, v9 dst_sel:DWORD dst_unused:UNUSED_PAD src0_sel:DWORD src1_sel:WORD_1
	v_mul_f16_sdwa v5, v4, v9 dst_sel:DWORD dst_unused:UNUSED_PAD src0_sel:DWORD src1_sel:WORD_1
	v_fma_f16 v6, v9, v4, v6
	v_fma_f16 v5, v9, v12, -v5
	v_mul_f16_e32 v4, v15, v6
	v_mul_f16_e32 v6, v13, v6
	v_fma_f16 v4, v13, v5, -v4
	v_fma_f16 v5, v15, v5, v6
	s_waitcnt lgkmcnt(1)
	v_lshrrev_b32_e32 v6, 16, v10
	s_waitcnt lgkmcnt(0)
	v_mul_f16_sdwa v9, v6, v17 dst_sel:DWORD dst_unused:UNUSED_PAD src0_sel:DWORD src1_sel:WORD_1
	v_fma_f16 v9, v10, v17, -v9
	v_mul_f16_sdwa v10, v10, v17 dst_sel:DWORD dst_unused:UNUSED_PAD src0_sel:DWORD src1_sel:WORD_1
	v_fma_f16 v6, v6, v17, v10
	v_lshrrev_b32_e32 v10, 10, v27
	v_lshrrev_b32_e32 v13, 4, v38
	;; [unrolled: 1-line block ×5, first 2 shown]
	v_and_b32_e32 v10, 0xfc, v10
	v_and_b32_e32 v12, 63, v38
	;; [unrolled: 1-line block ×8, first 2 shown]
	v_add_u32_e32 v10, s11, v10
	v_lshl_add_u32 v12, v12, 2, 0
	v_add_u32_e32 v13, s11, v13
	v_add_u32_e32 v15, s11, v15
	v_lshl_add_u32 v17, v17, 2, 0
	v_add_u32_e32 v18, s11, v18
	v_add_u32_e32 v27, s11, v27
	v_lshl_add_u32 v33, v33, 2, 0
	ds_read_b32 v10, v10 offset:512
	ds_read_b32 v12, v12 offset:5324
	;; [unrolled: 1-line block ×8, first 2 shown]
	s_waitcnt lgkmcnt(7)
	v_mul_f16_sdwa v38, v6, v10 dst_sel:DWORD dst_unused:UNUSED_PAD src0_sel:DWORD src1_sel:WORD_1
	v_fma_f16 v38, v10, v9, -v38
	v_mul_f16_sdwa v9, v9, v10 dst_sel:DWORD dst_unused:UNUSED_PAD src0_sel:DWORD src1_sel:WORD_1
	v_fma_f16 v9, v10, v6, v9
	v_mul_f16_e32 v6, v28, v9
	s_waitcnt lgkmcnt(6)
	v_lshrrev_b32_e32 v10, 16, v12
	v_fma_f16 v6, v11, v38, -v6
	v_mul_f16_e32 v9, v11, v9
	s_waitcnt lgkmcnt(5)
	v_mul_f16_sdwa v11, v10, v13 dst_sel:DWORD dst_unused:UNUSED_PAD src0_sel:DWORD src1_sel:WORD_1
	v_fma_f16 v11, v12, v13, -v11
	v_mul_f16_sdwa v12, v12, v13 dst_sel:DWORD dst_unused:UNUSED_PAD src0_sel:DWORD src1_sel:WORD_1
	v_fma_f16 v10, v10, v13, v12
	s_waitcnt lgkmcnt(4)
	v_mul_f16_sdwa v12, v10, v15 dst_sel:DWORD dst_unused:UNUSED_PAD src0_sel:DWORD src1_sel:WORD_1
	v_fma_f16 v12, v15, v11, -v12
	v_mul_f16_sdwa v11, v11, v15 dst_sel:DWORD dst_unused:UNUSED_PAD src0_sel:DWORD src1_sel:WORD_1
	v_fma_f16 v11, v15, v10, v11
	v_mul_f16_e32 v10, v29, v11
	v_mul_f16_e32 v11, v14, v11
	v_fma_f16 v10, v14, v12, -v10
	v_fma_f16 v11, v29, v12, v11
	s_waitcnt lgkmcnt(3)
	v_lshrrev_b32_e32 v12, 16, v17
	s_waitcnt lgkmcnt(2)
	v_mul_f16_sdwa v14, v17, v18 dst_sel:DWORD dst_unused:UNUSED_PAD src0_sel:DWORD src1_sel:WORD_1
	v_mul_f16_sdwa v13, v12, v18 dst_sel:DWORD dst_unused:UNUSED_PAD src0_sel:DWORD src1_sel:WORD_1
	v_fma_f16 v12, v12, v18, v14
	v_fma_f16 v13, v17, v18, -v13
	s_waitcnt lgkmcnt(1)
	v_mul_f16_sdwa v14, v12, v27 dst_sel:DWORD dst_unused:UNUSED_PAD src0_sel:DWORD src1_sel:WORD_1
	v_fma_f16 v14, v27, v13, -v14
	v_mul_f16_sdwa v13, v13, v27 dst_sel:DWORD dst_unused:UNUSED_PAD src0_sel:DWORD src1_sel:WORD_1
	v_fma_f16 v13, v27, v12, v13
	v_mul_f16_e32 v12, v36, v13
	v_mul_f16_e32 v13, v16, v13
	v_fma_f16 v12, v16, v14, -v12
	v_fma_f16 v13, v36, v14, v13
	v_lshrrev_b32_e32 v15, 4, v41
	v_lshrrev_b32_e32 v16, 10, v41
	;; [unrolled: 1-line block ×6, first 2 shown]
	v_fma_f16 v9, v28, v38, v9
	v_and_b32_e32 v15, 0xfc, v15
	v_and_b32_e32 v16, 0xfc, v16
	;; [unrolled: 1-line block ×8, first 2 shown]
	s_waitcnt lgkmcnt(0)
	v_lshrrev_b32_e32 v14, 16, v33
	v_add_u32_e32 v15, s11, v15
	v_add_u32_e32 v16, s11, v16
	v_lshl_add_u32 v17, v17, 2, 0
	v_add_u32_e32 v18, s11, v18
	v_add_u32_e32 v27, s11, v27
	v_lshl_add_u32 v28, v28, 2, 0
	v_add_u32_e32 v29, s11, v29
	v_add_u32_e32 v36, s11, v36
	ds_read_b32 v15, v15 offset:256
	ds_read_b32 v16, v16 offset:512
	;; [unrolled: 1-line block ×8, first 2 shown]
	s_waitcnt lgkmcnt(7)
	v_mul_f16_sdwa v38, v14, v15 dst_sel:DWORD dst_unused:UNUSED_PAD src0_sel:DWORD src1_sel:WORD_1
	v_fma_f16 v38, v33, v15, -v38
	v_mul_f16_sdwa v33, v33, v15 dst_sel:DWORD dst_unused:UNUSED_PAD src0_sel:DWORD src1_sel:WORD_1
	v_fma_f16 v14, v14, v15, v33
	s_waitcnt lgkmcnt(6)
	v_mul_f16_sdwa v15, v14, v16 dst_sel:DWORD dst_unused:UNUSED_PAD src0_sel:DWORD src1_sel:WORD_1
	v_mul_f16_sdwa v33, v38, v16 dst_sel:DWORD dst_unused:UNUSED_PAD src0_sel:DWORD src1_sel:WORD_1
	v_fma_f16 v15, v16, v38, -v15
	v_fma_f16 v16, v16, v14, v33
	v_mul_f16_e32 v14, v39, v16
	v_mul_f16_e32 v16, v37, v16
	v_fma_f16 v14, v37, v15, -v14
	v_fma_f16 v15, v39, v15, v16
	s_waitcnt lgkmcnt(5)
	v_lshrrev_b32_e32 v16, 16, v17
	s_waitcnt lgkmcnt(4)
	v_mul_f16_sdwa v33, v16, v18 dst_sel:DWORD dst_unused:UNUSED_PAD src0_sel:DWORD src1_sel:WORD_1
	v_fma_f16 v33, v17, v18, -v33
	v_mul_f16_sdwa v17, v17, v18 dst_sel:DWORD dst_unused:UNUSED_PAD src0_sel:DWORD src1_sel:WORD_1
	v_fma_f16 v16, v16, v18, v17
	s_waitcnt lgkmcnt(3)
	v_mul_f16_sdwa v18, v33, v27 dst_sel:DWORD dst_unused:UNUSED_PAD src0_sel:DWORD src1_sel:WORD_1
	v_mul_f16_sdwa v17, v16, v27 dst_sel:DWORD dst_unused:UNUSED_PAD src0_sel:DWORD src1_sel:WORD_1
	v_fma_f16 v18, v27, v16, v18
	v_fma_f16 v17, v27, v33, -v17
	v_mul_f16_e32 v16, v49, v18
	v_mul_f16_e32 v18, v47, v18
	v_fma_f16 v16, v47, v17, -v16
	v_fma_f16 v17, v49, v17, v18
	s_waitcnt lgkmcnt(2)
	v_lshrrev_b32_e32 v18, 16, v28
	s_waitcnt lgkmcnt(1)
	v_mul_f16_sdwa v27, v18, v29 dst_sel:DWORD dst_unused:UNUSED_PAD src0_sel:DWORD src1_sel:WORD_1
	v_fma_f16 v27, v28, v29, -v27
	v_mul_f16_sdwa v28, v28, v29 dst_sel:DWORD dst_unused:UNUSED_PAD src0_sel:DWORD src1_sel:WORD_1
	v_fma_f16 v18, v18, v29, v28
	s_waitcnt lgkmcnt(0)
	v_mul_f16_sdwa v28, v18, v36 dst_sel:DWORD dst_unused:UNUSED_PAD src0_sel:DWORD src1_sel:WORD_1
	v_fma_f16 v28, v36, v27, -v28
	v_mul_f16_sdwa v27, v27, v36 dst_sel:DWORD dst_unused:UNUSED_PAD src0_sel:DWORD src1_sel:WORD_1
	v_fma_f16 v27, v36, v18, v27
	v_mul_f16_e32 v18, v34, v27
	v_fma_f16 v18, v35, v28, -v18
	v_mul_f16_e32 v27, v35, v27
	v_lshrrev_b32_e32 v29, 4, v44
	v_lshrrev_b32_e32 v33, 10, v44
	;; [unrolled: 1-line block ×5, first 2 shown]
	v_fma_f16 v27, v34, v28, v27
	v_and_b32_e32 v28, 63, v44
	v_and_b32_e32 v29, 0xfc, v29
	;; [unrolled: 1-line block ×8, first 2 shown]
	v_lshl_add_u32 v28, v28, 2, 0
	v_add_u32_e32 v29, s11, v29
	v_add_u32_e32 v33, s11, v33
	v_lshl_add_u32 v34, v34, 2, 0
	v_add_u32_e32 v35, s11, v35
	v_add_u32_e32 v36, s11, v36
	v_lshl_add_u32 v37, v37, 2, 0
	v_add_u32_e32 v38, s11, v38
	ds_read_b32 v28, v28 offset:5324
	ds_read_b32 v29, v29 offset:256
	;; [unrolled: 1-line block ×8, first 2 shown]
	s_waitcnt lgkmcnt(7)
	v_lshrrev_b32_e32 v39, 16, v28
	s_waitcnt lgkmcnt(6)
	v_mul_f16_sdwa v40, v39, v29 dst_sel:DWORD dst_unused:UNUSED_PAD src0_sel:DWORD src1_sel:WORD_1
	v_fma_f16 v40, v28, v29, -v40
	v_mul_f16_sdwa v28, v28, v29 dst_sel:DWORD dst_unused:UNUSED_PAD src0_sel:DWORD src1_sel:WORD_1
	v_fma_f16 v28, v39, v29, v28
	s_waitcnt lgkmcnt(5)
	v_mul_f16_sdwa v29, v28, v33 dst_sel:DWORD dst_unused:UNUSED_PAD src0_sel:DWORD src1_sel:WORD_1
	v_mul_f16_sdwa v39, v40, v33 dst_sel:DWORD dst_unused:UNUSED_PAD src0_sel:DWORD src1_sel:WORD_1
	v_fma_f16 v29, v33, v40, -v29
	v_fma_f16 v33, v33, v28, v39
	v_mul_f16_e32 v28, v32, v33
	v_fma_f16 v28, v30, v29, -v28
	v_mul_f16_e32 v30, v30, v33
	v_fma_f16 v29, v32, v29, v30
	s_waitcnt lgkmcnt(4)
	v_lshrrev_b32_e32 v30, 16, v34
	s_waitcnt lgkmcnt(3)
	v_mul_f16_sdwa v33, v34, v35 dst_sel:DWORD dst_unused:UNUSED_PAD src0_sel:DWORD src1_sel:WORD_1
	v_mul_f16_sdwa v32, v30, v35 dst_sel:DWORD dst_unused:UNUSED_PAD src0_sel:DWORD src1_sel:WORD_1
	v_fma_f16 v30, v30, v35, v33
	v_fma_f16 v32, v34, v35, -v32
	s_waitcnt lgkmcnt(2)
	v_mul_f16_sdwa v33, v30, v36 dst_sel:DWORD dst_unused:UNUSED_PAD src0_sel:DWORD src1_sel:WORD_1
	v_fma_f16 v33, v36, v32, -v33
	v_mul_f16_sdwa v32, v32, v36 dst_sel:DWORD dst_unused:UNUSED_PAD src0_sel:DWORD src1_sel:WORD_1
	v_fma_f16 v32, v36, v30, v32
	v_mul_f16_e32 v30, v48, v32
	v_fma_f16 v30, v31, v33, -v30
	v_mul_f16_e32 v31, v31, v32
	v_fma_f16 v31, v48, v33, v31
	s_waitcnt lgkmcnt(1)
	v_lshrrev_b32_e32 v33, 16, v37
	s_waitcnt lgkmcnt(0)
	v_mul_f16_sdwa v34, v37, v38 dst_sel:DWORD dst_unused:UNUSED_PAD src0_sel:DWORD src1_sel:WORD_1
	v_mul_f16_sdwa v32, v33, v38 dst_sel:DWORD dst_unused:UNUSED_PAD src0_sel:DWORD src1_sel:WORD_1
	v_fma_f16 v33, v33, v38, v34
	v_fma_f16 v32, v37, v38, -v32
	v_mul_f16_sdwa v34, v33, v7 dst_sel:DWORD dst_unused:UNUSED_PAD src0_sel:DWORD src1_sel:WORD_1
	v_fma_f16 v34, v7, v32, -v34
	v_mul_f16_sdwa v32, v32, v7 dst_sel:DWORD dst_unused:UNUSED_PAD src0_sel:DWORD src1_sel:WORD_1
	v_fma_f16 v7, v7, v33, v32
	v_mul_f16_e32 v32, v1, v7
	v_fma_f16 v32, v0, v34, -v32
	v_mul_f16_e32 v0, v0, v7
	v_fma_f16 v0, v1, v34, v0
	v_pack_b32_f16 v1, v2, v3
	v_pack_b32_f16 v2, v4, v5
	s_barrier
	ds_write2_b32 v8, v1, v2 offset1:11
	v_pack_b32_f16 v1, v6, v9
	v_pack_b32_f16 v2, v10, v11
	ds_write2_b32 v8, v1, v2 offset0:22 offset1:33
	v_pack_b32_f16 v1, v12, v13
	v_pack_b32_f16 v2, v14, v15
	ds_write2_b32 v8, v1, v2 offset0:44 offset1:55
	;; [unrolled: 3-line block ×3, first 2 shown]
	v_pack_b32_f16 v1, v28, v29
	v_pack_b32_f16 v2, v30, v31
	;; [unrolled: 1-line block ×3, first 2 shown]
	ds_write2_b32 v8, v1, v2 offset0:88 offset1:99
	ds_write_b32 v8, v0 offset:440
	s_waitcnt lgkmcnt(0)
	s_barrier
	s_and_saveexec_b64 s[6:7], s[0:1]
	s_cbranch_execz .LBB0_19
; %bb.18:
	v_mad_u64_u32 v[0:1], s[0:1], s18, v25, 0
	v_mad_u64_u32 v[2:3], s[0:1], s16, v19, 0
	;; [unrolled: 1-line block ×3, first 2 shown]
	v_mov_b32_e32 v1, v3
	v_mad_u64_u32 v[5:6], s[0:1], s17, v19, v[1:2]
	s_movk_i32 s0, 0x1e4
	v_mul_lo_u32 v6, v25, s0
	v_mov_b32_e32 v1, v4
	s_lshl_b64 s[0:1], s[4:5], 2
	s_add_u32 s0, s2, s0
	v_lshlrev_b64 v[0:1], 2, v[0:1]
	s_addc_u32 s1, s3, s1
	v_add3_u32 v9, 0, v6, v26
	v_mov_b32_e32 v4, s1
	v_add_co_u32_e32 v10, vcc, s0, v0
	v_mov_b32_e32 v3, v5
	v_addc_co_u32_e32 v11, vcc, v4, v1, vcc
	ds_read2_b32 v[4:5], v9 offset1:11
	v_lshlrev_b64 v[0:1], 2, v[2:3]
	v_mad_u64_u32 v[2:3], s[0:1], s16, v24, 0
	v_add_co_u32_e32 v0, vcc, v10, v0
	s_waitcnt lgkmcnt(0)
	v_mad_u64_u32 v[6:7], s[0:1], s17, v24, v[3:4]
	v_addc_co_u32_e32 v1, vcc, v11, v1, vcc
	v_mad_u64_u32 v[7:8], s[0:1], s16, v23, 0
	v_mov_b32_e32 v3, v6
	global_store_dword v[0:1], v4, off
	v_lshlrev_b64 v[0:1], 2, v[2:3]
	v_mov_b32_e32 v2, v8
	v_add_co_u32_e32 v0, vcc, v10, v0
	v_addc_co_u32_e32 v1, vcc, v11, v1, vcc
	v_mad_u64_u32 v[2:3], s[0:1], s17, v23, v[2:3]
	global_store_dword v[0:1], v5, off
	v_mad_u64_u32 v[4:5], s[0:1], s16, v22, 0
	v_mov_b32_e32 v8, v2
	ds_read2_b32 v[0:1], v9 offset0:22 offset1:33
	v_mad_u64_u32 v[5:6], s[0:1], s17, v22, v[5:6]
	v_lshlrev_b64 v[2:3], 2, v[7:8]
	v_mad_u64_u32 v[6:7], s[0:1], s16, v21, 0
	v_add_co_u32_e32 v2, vcc, v10, v2
	v_addc_co_u32_e32 v3, vcc, v11, v3, vcc
	s_waitcnt lgkmcnt(0)
	global_store_dword v[2:3], v0, off
	v_mov_b32_e32 v0, v7
	v_lshlrev_b64 v[2:3], 2, v[4:5]
	v_mad_u64_u32 v[4:5], s[0:1], s17, v21, v[0:1]
	v_add_co_u32_e32 v2, vcc, v10, v2
	v_mov_b32_e32 v7, v4
	v_mad_u64_u32 v[4:5], s[0:1], s16, v20, 0
	v_addc_co_u32_e32 v3, vcc, v11, v3, vcc
	global_store_dword v[2:3], v1, off
	ds_read2_b32 v[0:1], v9 offset0:44 offset1:55
	v_lshlrev_b64 v[2:3], 2, v[6:7]
	v_mad_u64_u32 v[5:6], s[0:1], s17, v20, v[5:6]
	v_add_u32_e32 v8, 0x42, v19
	v_mad_u64_u32 v[6:7], s[0:1], s16, v8, 0
	v_add_co_u32_e32 v2, vcc, v10, v2
	v_addc_co_u32_e32 v3, vcc, v11, v3, vcc
	s_waitcnt lgkmcnt(0)
	global_store_dword v[2:3], v0, off
	v_mov_b32_e32 v0, v7
	v_lshlrev_b64 v[2:3], 2, v[4:5]
	v_mad_u64_u32 v[4:5], s[0:1], s17, v8, v[0:1]
	v_add_co_u32_e32 v2, vcc, v10, v2
	v_addc_co_u32_e32 v3, vcc, v11, v3, vcc
	v_mov_b32_e32 v7, v4
	global_store_dword v[2:3], v1, off
	v_lshlrev_b64 v[2:3], 2, v[6:7]
	v_add_u32_e32 v6, 0x4d, v19
	v_mad_u64_u32 v[4:5], s[0:1], s16, v6, 0
	ds_read2_b32 v[0:1], v9 offset0:66 offset1:77
	v_add_u32_e32 v8, 0x58, v19
	v_mad_u64_u32 v[5:6], s[0:1], s17, v6, v[5:6]
	v_mad_u64_u32 v[6:7], s[0:1], s16, v8, 0
	v_add_co_u32_e32 v2, vcc, v10, v2
	v_addc_co_u32_e32 v3, vcc, v11, v3, vcc
	s_waitcnt lgkmcnt(0)
	global_store_dword v[2:3], v0, off
	v_mov_b32_e32 v0, v7
	v_lshlrev_b64 v[2:3], 2, v[4:5]
	v_mad_u64_u32 v[4:5], s[0:1], s17, v8, v[0:1]
	v_add_co_u32_e32 v2, vcc, v10, v2
	v_addc_co_u32_e32 v3, vcc, v11, v3, vcc
	v_mov_b32_e32 v7, v4
	global_store_dword v[2:3], v1, off
	v_lshlrev_b64 v[2:3], 2, v[6:7]
	v_add_u32_e32 v6, 0x63, v19
	v_mad_u64_u32 v[4:5], s[0:1], s16, v6, 0
	ds_read2_b32 v[0:1], v9 offset0:88 offset1:99
	v_add_u32_e32 v8, 0x6e, v19
	v_mad_u64_u32 v[5:6], s[0:1], s17, v6, v[5:6]
	v_mad_u64_u32 v[6:7], s[0:1], s16, v8, 0
	v_add_co_u32_e32 v2, vcc, v10, v2
	v_addc_co_u32_e32 v3, vcc, v11, v3, vcc
	s_waitcnt lgkmcnt(0)
	global_store_dword v[2:3], v0, off
	v_mov_b32_e32 v0, v7
	v_lshlrev_b64 v[2:3], 2, v[4:5]
	v_mad_u64_u32 v[4:5], s[0:1], s17, v8, v[0:1]
	v_add_co_u32_e32 v2, vcc, v10, v2
	v_addc_co_u32_e32 v3, vcc, v11, v3, vcc
	global_store_dword v[2:3], v1, off
	v_mov_b32_e32 v7, v4
	ds_read_b32 v2, v9 offset:440
	v_lshlrev_b64 v[0:1], 2, v[6:7]
	v_add_co_u32_e32 v0, vcc, v10, v0
	v_addc_co_u32_e32 v1, vcc, v11, v1, vcc
	s_waitcnt lgkmcnt(0)
	global_store_dword v[0:1], v2, off
.LBB0_19:
	s_endpgm
	.section	.rodata,"a",@progbits
	.p2align	6, 0x0
	.amdhsa_kernel fft_rtc_fwd_len121_factors_11_11_wgs_121_tpt_11_half_ip_CI_sbcc_twdbase6_3step
		.amdhsa_group_segment_fixed_size 0
		.amdhsa_private_segment_fixed_size 0
		.amdhsa_kernarg_size 96
		.amdhsa_user_sgpr_count 6
		.amdhsa_user_sgpr_private_segment_buffer 1
		.amdhsa_user_sgpr_dispatch_ptr 0
		.amdhsa_user_sgpr_queue_ptr 0
		.amdhsa_user_sgpr_kernarg_segment_ptr 1
		.amdhsa_user_sgpr_dispatch_id 0
		.amdhsa_user_sgpr_flat_scratch_init 0
		.amdhsa_user_sgpr_private_segment_size 0
		.amdhsa_uses_dynamic_stack 0
		.amdhsa_system_sgpr_private_segment_wavefront_offset 0
		.amdhsa_system_sgpr_workgroup_id_x 1
		.amdhsa_system_sgpr_workgroup_id_y 0
		.amdhsa_system_sgpr_workgroup_id_z 0
		.amdhsa_system_sgpr_workgroup_info 0
		.amdhsa_system_vgpr_workitem_id 0
		.amdhsa_next_free_vgpr 62
		.amdhsa_next_free_sgpr 43
		.amdhsa_reserve_vcc 1
		.amdhsa_reserve_flat_scratch 0
		.amdhsa_float_round_mode_32 0
		.amdhsa_float_round_mode_16_64 0
		.amdhsa_float_denorm_mode_32 3
		.amdhsa_float_denorm_mode_16_64 3
		.amdhsa_dx10_clamp 1
		.amdhsa_ieee_mode 1
		.amdhsa_fp16_overflow 0
		.amdhsa_exception_fp_ieee_invalid_op 0
		.amdhsa_exception_fp_denorm_src 0
		.amdhsa_exception_fp_ieee_div_zero 0
		.amdhsa_exception_fp_ieee_overflow 0
		.amdhsa_exception_fp_ieee_underflow 0
		.amdhsa_exception_fp_ieee_inexact 0
		.amdhsa_exception_int_div_zero 0
	.end_amdhsa_kernel
	.text
.Lfunc_end0:
	.size	fft_rtc_fwd_len121_factors_11_11_wgs_121_tpt_11_half_ip_CI_sbcc_twdbase6_3step, .Lfunc_end0-fft_rtc_fwd_len121_factors_11_11_wgs_121_tpt_11_half_ip_CI_sbcc_twdbase6_3step
                                        ; -- End function
	.section	.AMDGPU.csdata,"",@progbits
; Kernel info:
; codeLenInByte = 10036
; NumSgprs: 47
; NumVgprs: 62
; ScratchSize: 0
; MemoryBound: 0
; FloatMode: 240
; IeeeMode: 1
; LDSByteSize: 0 bytes/workgroup (compile time only)
; SGPRBlocks: 5
; VGPRBlocks: 15
; NumSGPRsForWavesPerEU: 47
; NumVGPRsForWavesPerEU: 62
; Occupancy: 4
; WaveLimiterHint : 1
; COMPUTE_PGM_RSRC2:SCRATCH_EN: 0
; COMPUTE_PGM_RSRC2:USER_SGPR: 6
; COMPUTE_PGM_RSRC2:TRAP_HANDLER: 0
; COMPUTE_PGM_RSRC2:TGID_X_EN: 1
; COMPUTE_PGM_RSRC2:TGID_Y_EN: 0
; COMPUTE_PGM_RSRC2:TGID_Z_EN: 0
; COMPUTE_PGM_RSRC2:TIDIG_COMP_CNT: 0
	.type	__hip_cuid_aafa41ce54e28d56,@object ; @__hip_cuid_aafa41ce54e28d56
	.section	.bss,"aw",@nobits
	.globl	__hip_cuid_aafa41ce54e28d56
__hip_cuid_aafa41ce54e28d56:
	.byte	0                               ; 0x0
	.size	__hip_cuid_aafa41ce54e28d56, 1

	.ident	"AMD clang version 19.0.0git (https://github.com/RadeonOpenCompute/llvm-project roc-6.4.0 25133 c7fe45cf4b819c5991fe208aaa96edf142730f1d)"
	.section	".note.GNU-stack","",@progbits
	.addrsig
	.addrsig_sym __hip_cuid_aafa41ce54e28d56
	.amdgpu_metadata
---
amdhsa.kernels:
  - .args:
      - .actual_access:  read_only
        .address_space:  global
        .offset:         0
        .size:           8
        .value_kind:     global_buffer
      - .address_space:  global
        .offset:         8
        .size:           8
        .value_kind:     global_buffer
      - .offset:         16
        .size:           8
        .value_kind:     by_value
      - .actual_access:  read_only
        .address_space:  global
        .offset:         24
        .size:           8
        .value_kind:     global_buffer
      - .actual_access:  read_only
        .address_space:  global
        .offset:         32
        .size:           8
        .value_kind:     global_buffer
      - .offset:         40
        .size:           8
        .value_kind:     by_value
      - .actual_access:  read_only
        .address_space:  global
        .offset:         48
        .size:           8
        .value_kind:     global_buffer
      - .actual_access:  read_only
        .address_space:  global
        .offset:         56
        .size:           8
        .value_kind:     global_buffer
      - .offset:         64
        .size:           4
        .value_kind:     by_value
      - .actual_access:  read_only
        .address_space:  global
        .offset:         72
        .size:           8
        .value_kind:     global_buffer
      - .actual_access:  read_only
        .address_space:  global
        .offset:         80
        .size:           8
        .value_kind:     global_buffer
      - .address_space:  global
        .offset:         88
        .size:           8
        .value_kind:     global_buffer
    .group_segment_fixed_size: 0
    .kernarg_segment_align: 8
    .kernarg_segment_size: 96
    .language:       OpenCL C
    .language_version:
      - 2
      - 0
    .max_flat_workgroup_size: 121
    .name:           fft_rtc_fwd_len121_factors_11_11_wgs_121_tpt_11_half_ip_CI_sbcc_twdbase6_3step
    .private_segment_fixed_size: 0
    .sgpr_count:     47
    .sgpr_spill_count: 0
    .symbol:         fft_rtc_fwd_len121_factors_11_11_wgs_121_tpt_11_half_ip_CI_sbcc_twdbase6_3step.kd
    .uniform_work_group_size: 1
    .uses_dynamic_stack: false
    .vgpr_count:     62
    .vgpr_spill_count: 0
    .wavefront_size: 64
amdhsa.target:   amdgcn-amd-amdhsa--gfx906
amdhsa.version:
  - 1
  - 2
...

	.end_amdgpu_metadata
